;; amdgpu-corpus repo=ROCm/rocFFT kind=compiled arch=gfx1030 opt=O3
	.text
	.amdgcn_target "amdgcn-amd-amdhsa--gfx1030"
	.amdhsa_code_object_version 6
	.protected	bluestein_single_fwd_len1105_dim1_sp_op_CI_CI ; -- Begin function bluestein_single_fwd_len1105_dim1_sp_op_CI_CI
	.globl	bluestein_single_fwd_len1105_dim1_sp_op_CI_CI
	.p2align	8
	.type	bluestein_single_fwd_len1105_dim1_sp_op_CI_CI,@function
bluestein_single_fwd_len1105_dim1_sp_op_CI_CI: ; @bluestein_single_fwd_len1105_dim1_sp_op_CI_CI
; %bb.0:
	s_load_dwordx4 s[0:3], s[4:5], 0x28
	v_mul_u32_u24_e32 v1, 0x304, v0
	v_lshrrev_b32_e32 v1, 16, v1
	v_mad_u64_u32 v[84:85], null, s6, 3, v[1:2]
	v_mov_b32_e32 v85, 0
	s_waitcnt lgkmcnt(0)
	v_cmp_gt_u64_e32 vcc_lo, s[0:1], v[84:85]
	s_and_saveexec_b32 s0, vcc_lo
	s_cbranch_execz .LBB0_23
; %bb.1:
	v_mul_hi_u32 v2, 0xaaaaaaab, v84
	s_clause 0x1
	s_load_dwordx2 s[12:13], s[4:5], 0x0
	s_load_dwordx2 s[14:15], s[4:5], 0x38
	v_mul_lo_u16 v1, 0x55, v1
	v_sub_nc_u16 v0, v0, v1
	v_lshrrev_b32_e32 v2, 1, v2
	v_and_b32_e32 v88, 0xffff, v0
	v_lshl_add_u32 v2, v2, 1, v2
	v_cmp_gt_u16_e32 vcc_lo, 0x41, v0
	v_lshlrev_b32_e32 v87, 3, v88
	v_sub_nc_u32_e32 v1, v84, v2
	v_mul_u32_u24_e32 v89, 0x451, v1
	v_lshlrev_b32_e32 v90, 3, v89
	s_and_saveexec_b32 s1, vcc_lo
	s_cbranch_execz .LBB0_3
; %bb.2:
	s_load_dwordx2 s[6:7], s[4:5], 0x18
	s_waitcnt lgkmcnt(0)
	v_add_co_u32 v20, s0, s12, v87
	v_add_co_ci_u32_e64 v21, null, s13, 0, s0
	v_add_nc_u32_e32 v70, v90, v87
	v_add_co_u32 v12, s0, 0x800, v20
	v_add_co_ci_u32_e64 v13, s0, 0, v21, s0
	v_lshl_add_u32 v71, v88, 3, v90
	v_add_nc_u32_e32 v73, 0x800, v70
	v_add_nc_u32_e32 v72, 0x400, v70
	;; [unrolled: 1-line block ×6, first 2 shown]
	s_load_dwordx4 s[8:11], s[6:7], 0x0
	s_clause 0x7
	global_load_dwordx2 v[4:5], v87, s[12:13]
	global_load_dwordx2 v[6:7], v87, s[12:13] offset:520
	global_load_dwordx2 v[8:9], v87, s[12:13] offset:1040
	;; [unrolled: 1-line block ×3, first 2 shown]
	global_load_dwordx2 v[22:23], v[12:13], off offset:32
	global_load_dwordx2 v[24:25], v[12:13], off offset:552
	;; [unrolled: 1-line block ×4, first 2 shown]
	s_waitcnt lgkmcnt(0)
	v_mad_u64_u32 v[0:1], null, s10, v84, 0
	v_mad_u64_u32 v[2:3], null, s8, v88, 0
	s_mul_i32 s6, s9, 0x208
	s_mul_hi_u32 s7, s8, 0x208
	s_add_i32 s7, s7, s6
	v_mad_u64_u32 v[14:15], null, s11, v84, v[1:2]
	v_add_co_u32 v15, s0, 0x1000, v20
	v_add_co_ci_u32_e64 v16, s0, 0, v21, s0
	v_mov_b32_e32 v1, v14
	s_clause 0x3
	global_load_dwordx2 v[28:29], v[15:16], off offset:64
	global_load_dwordx2 v[30:31], v[15:16], off offset:584
	;; [unrolled: 1-line block ×4, first 2 shown]
	v_lshlrev_b64 v[0:1], 3, v[0:1]
	s_waitcnt vmcnt(11)
	v_mad_u64_u32 v[17:18], null, s9, v88, v[3:4]
	v_add_co_u32 v18, s0, 0x1800, v20
	v_add_co_ci_u32_e64 v19, s0, 0, v21, s0
	v_add_co_u32 v20, s0, 0x2000, v20
	v_mov_b32_e32 v3, v17
	v_add_co_ci_u32_e64 v21, s0, 0, v21, s0
	v_add_co_u32 v0, s0, s2, v0
	v_lshlrev_b64 v[2:3], 3, v[2:3]
	v_add_co_ci_u32_e64 v1, s0, s3, v1, s0
	s_mul_i32 s2, s8, 0x208
	s_clause 0x2
	global_load_dwordx2 v[34:35], v[18:19], off offset:96
	global_load_dwordx2 v[36:37], v[18:19], off offset:616
	;; [unrolled: 1-line block ×3, first 2 shown]
	v_add_co_u32 v0, s0, v0, v2
	v_add_co_ci_u32_e64 v1, s0, v1, v3, s0
	v_add_co_u32 v2, s0, v0, s2
	v_add_co_ci_u32_e64 v3, s0, s7, v1, s0
	global_load_dwordx2 v[0:1], v[0:1], off
	v_add_co_u32 v16, s0, v2, s2
	v_add_co_ci_u32_e64 v17, s0, s7, v3, s0
	v_add_co_u32 v40, s0, v16, s2
	v_add_co_ci_u32_e64 v41, s0, s7, v17, s0
	;; [unrolled: 2-line block ×3, first 2 shown]
	s_clause 0x2
	global_load_dwordx2 v[2:3], v[2:3], off
	global_load_dwordx2 v[16:17], v[16:17], off
	;; [unrolled: 1-line block ×3, first 2 shown]
	v_add_co_u32 v44, s0, v42, s2
	v_add_co_ci_u32_e64 v45, s0, s7, v43, s0
	global_load_dwordx2 v[42:43], v[42:43], off
	v_add_co_u32 v46, s0, v44, s2
	v_add_co_ci_u32_e64 v47, s0, s7, v45, s0
	global_load_dwordx2 v[44:45], v[44:45], off
	;; [unrolled: 3-line block ×11, first 2 shown]
	v_add_co_u32 v66, s0, v64, s2
	v_add_co_ci_u32_e64 v67, s0, s7, v65, s0
	global_load_dwordx2 v[18:19], v[18:19], off offset:1656
	global_load_dwordx2 v[64:65], v[64:65], off
	global_load_dwordx2 v[20:21], v[20:21], off offset:128
	global_load_dwordx2 v[66:67], v[66:67], off
	s_waitcnt vmcnt(18)
	v_mul_f32_e32 v68, v1, v5
	v_mul_f32_e32 v5, v0, v5
	v_fmac_f32_e32 v68, v0, v4
	v_fma_f32 v69, v1, v4, -v5
	ds_write_b64 v71, v[68:69]
	s_waitcnt vmcnt(17)
	v_mul_f32_e32 v0, v3, v7
	v_mul_f32_e32 v1, v2, v7
	s_waitcnt vmcnt(15)
	v_mul_f32_e32 v4, v41, v11
	v_mul_f32_e32 v5, v40, v11
	v_fmac_f32_e32 v0, v2, v6
	v_mul_f32_e32 v2, v17, v9
	v_fma_f32 v1, v3, v6, -v1
	v_mul_f32_e32 v3, v16, v9
	v_fmac_f32_e32 v4, v40, v10
	v_fma_f32 v5, v41, v10, -v5
	v_fmac_f32_e32 v2, v16, v8
	s_waitcnt vmcnt(13)
	v_mul_f32_e32 v9, v44, v25
	v_fma_f32 v3, v17, v8, -v3
	v_mul_f32_e32 v8, v45, v25
	v_mul_f32_e32 v6, v43, v23
	;; [unrolled: 1-line block ×3, first 2 shown]
	s_waitcnt vmcnt(12)
	v_mul_f32_e32 v10, v47, v27
	v_mul_f32_e32 v11, v46, v27
	v_fmac_f32_e32 v8, v44, v24
	v_fma_f32 v9, v45, v24, -v9
	v_fmac_f32_e32 v6, v42, v22
	v_fmac_f32_e32 v10, v46, v26
	v_fma_f32 v11, v47, v26, -v11
	v_fma_f32 v7, v43, v22, -v7
	ds_write2_b64 v70, v[0:1], v[2:3] offset0:65 offset1:130
	ds_write2_b64 v72, v[4:5], v[6:7] offset0:67 offset1:132
	s_waitcnt vmcnt(11)
	v_mul_f32_e32 v0, v49, v13
	v_mul_f32_e32 v1, v48, v13
	ds_write2_b64 v73, v[8:9], v[10:11] offset0:69 offset1:134
	s_waitcnt vmcnt(10)
	v_mul_f32_e32 v2, v51, v29
	v_mul_f32_e32 v3, v50, v29
	s_waitcnt vmcnt(9)
	v_mul_f32_e32 v4, v53, v31
	v_mul_f32_e32 v5, v52, v31
	v_fmac_f32_e32 v0, v48, v12
	s_waitcnt vmcnt(8)
	v_mul_f32_e32 v6, v55, v33
	v_mul_f32_e32 v7, v54, v33
	v_fma_f32 v1, v49, v12, -v1
	v_fmac_f32_e32 v2, v50, v28
	v_fma_f32 v3, v51, v28, -v3
	s_waitcnt vmcnt(7)
	v_mul_f32_e32 v8, v57, v15
	v_mul_f32_e32 v9, v56, v15
	v_fmac_f32_e32 v4, v52, v30
	v_fma_f32 v5, v53, v30, -v5
	v_fmac_f32_e32 v6, v54, v32
	s_waitcnt vmcnt(6)
	v_mul_f32_e32 v10, v59, v35
	v_mul_f32_e32 v11, v58, v35
	v_fmac_f32_e32 v8, v56, v14
	v_fma_f32 v9, v57, v14, -v9
	v_fma_f32 v7, v55, v32, -v7
	s_waitcnt vmcnt(5)
	v_mul_f32_e32 v12, v61, v37
	v_mul_f32_e32 v13, v60, v37
	v_fmac_f32_e32 v10, v58, v34
	v_fma_f32 v11, v59, v34, -v11
	s_waitcnt vmcnt(4)
	v_mul_f32_e32 v14, v63, v39
	v_mul_f32_e32 v15, v62, v39
	v_fmac_f32_e32 v12, v60, v36
	s_waitcnt vmcnt(2)
	v_mul_f32_e32 v16, v65, v19
	v_mul_f32_e32 v17, v64, v19
	s_waitcnt vmcnt(0)
	v_mul_f32_e32 v19, v67, v21
	v_mul_f32_e32 v21, v66, v21
	v_fma_f32 v13, v61, v36, -v13
	v_fmac_f32_e32 v14, v62, v38
	v_fma_f32 v15, v63, v38, -v15
	v_fmac_f32_e32 v16, v64, v18
	v_fma_f32 v17, v65, v18, -v17
	v_fmac_f32_e32 v19, v66, v20
	v_fma_f32 v20, v67, v20, -v21
	v_add_nc_u32_e32 v18, 0x1c00, v70
	ds_write2_b64 v74, v[0:1], v[2:3] offset0:71 offset1:136
	ds_write2_b64 v75, v[4:5], v[6:7] offset0:73 offset1:138
	;; [unrolled: 1-line block ×5, first 2 shown]
.LBB0_3:
	s_or_b32 exec_lo, exec_lo, s1
	s_clause 0x1
	s_load_dwordx2 s[0:1], s[4:5], 0x20
	s_load_dwordx2 s[2:3], s[4:5], 0x8
	v_mov_b32_e32 v4, 0
	v_mov_b32_e32 v5, 0
	s_waitcnt lgkmcnt(0)
	s_barrier
	buffer_gl0_inv
                                        ; implicit-def: $vgpr22
                                        ; implicit-def: $vgpr16
                                        ; implicit-def: $vgpr12
                                        ; implicit-def: $vgpr8
                                        ; implicit-def: $vgpr36
                                        ; implicit-def: $vgpr26
                                        ; implicit-def: $vgpr30
                                        ; implicit-def: $vgpr34
	s_and_saveexec_b32 s4, vcc_lo
	s_cbranch_execz .LBB0_5
; %bb.4:
	v_lshl_add_u32 v0, v89, 3, v87
	v_add_nc_u32_e32 v1, 0x800, v0
	v_add_nc_u32_e32 v2, 0x1000, v0
	;; [unrolled: 1-line block ×3, first 2 shown]
	ds_read2_b64 v[4:7], v0 offset1:65
	ds_read2_b64 v[32:35], v0 offset0:130 offset1:195
	ds_read2_b64 v[28:31], v1 offset0:4 offset1:69
	;; [unrolled: 1-line block ×7, first 2 shown]
	ds_read_b64 v[36:37], v0 offset:8320
.LBB0_5:
	s_or_b32 exec_lo, exec_lo, s4
	s_waitcnt lgkmcnt(0)
	v_sub_f32_e32 v103, v7, v37
	v_sub_f32_e32 v106, v6, v36
	v_add_f32_e32 v38, v36, v6
	v_add_f32_e32 v39, v37, v7
	v_sub_f32_e32 v108, v33, v11
	v_mul_f32_e32 v73, 0xbf65296c, v103
	v_mul_f32_e32 v56, 0xbeb8f4ab, v103
	;; [unrolled: 1-line block ×4, first 2 shown]
	v_sub_f32_e32 v109, v32, v10
	v_fmamk_f32 v40, v38, 0x3ee437d1, v73
	v_fmamk_f32 v0, v38, 0x3f6eb680, v56
	v_fma_f32 v43, 0x3ee437d1, v39, -v76
	v_mul_f32_e32 v58, 0xbf2c7751, v108
	v_mul_f32_e32 v61, 0xbf2c7751, v103
	v_add_f32_e32 v42, v40, v4
	v_add_f32_e32 v40, v10, v32
	v_mul_f32_e32 v64, 0xbf2c7751, v106
	v_fma_f32 v1, 0x3f6eb680, v39, -v57
	v_add_f32_e32 v0, v0, v4
	v_add_f32_e32 v41, v11, v33
	v_mul_f32_e32 v59, 0xbf2c7751, v109
	v_add_f32_e32 v44, v43, v5
	v_fmamk_f32 v43, v40, 0x3f3d2fb0, v58
	v_mul_f32_e32 v79, 0xbf4c4adb, v108
	v_fmamk_f32 v2, v38, 0x3f3d2fb0, v61
	v_fma_f32 v3, 0x3f3d2fb0, v39, -v64
	v_add_f32_e32 v1, v1, v5
	v_mul_f32_e32 v65, 0xbf7ee86f, v108
	v_mul_f32_e32 v68, 0xbf7ee86f, v109
	v_fma_f32 v45, 0x3f3d2fb0, v41, -v59
	v_add_f32_e32 v0, v43, v0
	v_fmamk_f32 v43, v40, 0xbf1a4643, v79
	v_sub_f32_e32 v112, v35, v9
	v_add_f32_e32 v2, v2, v4
	v_add_f32_e32 v3, v3, v5
	v_fmamk_f32 v46, v40, 0x3dbcf732, v65
	v_fma_f32 v47, 0x3dbcf732, v41, -v68
	v_add_f32_e32 v1, v45, v1
	v_mul_f32_e32 v91, 0xbf4c4adb, v109
	v_sub_f32_e32 v113, v34, v8
	v_add_f32_e32 v45, v43, v42
	v_add_f32_e32 v42, v8, v34
	v_mul_f32_e32 v60, 0xbf65296c, v112
	v_add_f32_e32 v2, v46, v2
	v_add_f32_e32 v3, v47, v3
	;; [unrolled: 1-line block ×3, first 2 shown]
	v_mul_f32_e32 v62, 0xbf65296c, v113
	v_fma_f32 v46, 0xbf1a4643, v41, -v91
	v_mul_f32_e32 v69, 0xbf4c4adb, v112
	v_fmamk_f32 v47, v42, 0x3ee437d1, v60
	v_mul_f32_e32 v93, 0x3e3c28d5, v112
	v_mul_f32_e32 v70, 0xbf4c4adb, v113
	v_fma_f32 v48, 0x3ee437d1, v43, -v62
	v_add_f32_e32 v46, v46, v44
	v_fmamk_f32 v44, v42, 0xbf1a4643, v69
	v_add_f32_e32 v0, v47, v0
	v_sub_f32_e32 v116, v29, v15
	v_mul_f32_e32 v96, 0x3e3c28d5, v113
	v_fmamk_f32 v47, v42, 0xbf7ba420, v93
	v_sub_f32_e32 v117, v28, v14
	v_fma_f32 v49, 0xbf1a4643, v43, -v70
	v_add_f32_e32 v1, v48, v1
	v_add_f32_e32 v2, v44, v2
	;; [unrolled: 1-line block ×3, first 2 shown]
	v_mul_f32_e32 v63, 0xbf7ee86f, v116
	v_fma_f32 v48, 0xbf7ba420, v43, -v96
	v_add_f32_e32 v47, v47, v45
	v_add_f32_e32 v45, v15, v29
	v_mul_f32_e32 v66, 0xbf7ee86f, v117
	v_add_f32_e32 v3, v49, v3
	v_fmamk_f32 v49, v44, 0x3dbcf732, v63
	v_add_f32_e32 v48, v48, v46
	v_mul_f32_e32 v74, 0xbe3c28d5, v116
	v_mul_f32_e32 v77, 0xbe3c28d5, v117
	v_fma_f32 v46, 0x3dbcf732, v45, -v66
	v_mul_f32_e32 v98, 0x3f763a35, v116
	v_add_f32_e32 v0, v49, v0
	v_fmamk_f32 v49, v44, 0xbf7ba420, v74
	v_fma_f32 v50, 0xbf7ba420, v45, -v77
	v_add_f32_e32 v1, v46, v1
	v_mul_f32_e32 v99, 0x3f763a35, v117
	v_fmamk_f32 v46, v44, 0xbe8c1d8e, v98
	v_sub_f32_e32 v125, v31, v13
	v_add_f32_e32 v2, v49, v2
	v_add_f32_e32 v3, v50, v3
	v_fma_f32 v49, 0xbe8c1d8e, v45, -v99
	v_add_f32_e32 v50, v46, v47
	v_sub_f32_e32 v126, v30, v12
	v_add_f32_e32 v46, v12, v30
	v_mul_f32_e32 v67, 0xbf763a35, v125
	v_add_f32_e32 v51, v49, v48
	v_add_f32_e32 v47, v13, v31
	v_mul_f32_e32 v80, 0x3f06c442, v125
	v_mul_f32_e32 v83, 0x3f06c442, v126
	v_fmamk_f32 v48, v46, 0xbe8c1d8e, v67
	v_mul_f32_e32 v72, 0xbf763a35, v126
	v_mul_f32_e32 v105, 0x3f2c7751, v126
	v_fmamk_f32 v52, v46, 0xbf59a7d5, v80
	v_sub_f32_e32 v127, v25, v19
	v_add_f32_e32 v0, v48, v0
	v_fma_f32 v48, 0xbf59a7d5, v47, -v83
	v_mul_f32_e32 v101, 0x3f2c7751, v125
	v_fma_f32 v49, 0xbe8c1d8e, v47, -v72
	v_add_f32_e32 v2, v52, v2
	v_sub_f32_e32 v128, v24, v18
	v_add_f32_e32 v3, v48, v3
	v_fma_f32 v52, 0x3f3d2fb0, v47, -v105
	v_add_f32_e32 v48, v18, v24
	v_mul_f32_e32 v71, 0xbf4c4adb, v127
	v_fmamk_f32 v53, v46, 0x3f3d2fb0, v101
	v_add_f32_e32 v1, v49, v1
	v_add_f32_e32 v49, v19, v25
	v_mul_f32_e32 v75, 0xbf4c4adb, v128
	v_add_f32_e32 v52, v52, v51
	v_mul_f32_e32 v92, 0x3f763a35, v127
	v_fmamk_f32 v51, v48, 0xbf1a4643, v71
	v_mul_f32_e32 v107, 0xbeb8f4ab, v127
	v_add_f32_e32 v50, v53, v50
	v_fma_f32 v53, 0xbf1a4643, v49, -v75
	v_fmamk_f32 v54, v48, 0xbe8c1d8e, v92
	v_add_f32_e32 v0, v51, v0
	v_fmamk_f32 v51, v48, 0x3f6eb680, v107
	v_sub_f32_e32 v129, v27, v17
	v_mul_f32_e32 v111, 0xbeb8f4ab, v128
	v_sub_f32_e32 v131, v26, v16
	v_mul_f32_e32 v94, 0x3f763a35, v128
	v_add_f32_e32 v1, v53, v1
	v_add_f32_e32 v2, v54, v2
	;; [unrolled: 1-line block ×4, first 2 shown]
	v_fma_f32 v54, 0x3f6eb680, v49, -v111
	v_add_f32_e32 v51, v17, v27
	v_mul_f32_e32 v81, 0xbf06c442, v131
	v_mul_f32_e32 v97, 0x3f65296c, v129
	v_fma_f32 v55, 0xbe8c1d8e, v49, -v94
	v_mul_f32_e32 v78, 0xbf06c442, v129
	v_add_f32_e32 v54, v54, v52
	v_fma_f32 v52, 0xbf59a7d5, v51, -v81
	v_fmamk_f32 v82, v50, 0x3ee437d1, v97
	v_sub_f32_e32 v132, v21, v23
	v_add_f32_e32 v3, v55, v3
	v_fmamk_f32 v55, v50, 0xbf59a7d5, v78
	v_add_f32_e32 v1, v52, v1
	v_add_f32_e32 v2, v82, v2
	v_mul_f32_e32 v114, 0xbf7ee86f, v131
	v_add_f32_e32 v52, v22, v20
	v_mul_f32_e32 v82, 0xbe3c28d5, v132
	v_mul_f32_e32 v100, 0x3f65296c, v131
	v_add_f32_e32 v0, v55, v0
	v_fma_f32 v85, 0x3dbcf732, v51, -v114
	v_mul_f32_e32 v133, 0xbf7ee86f, v103
	v_fmamk_f32 v86, v52, 0xbf7ba420, v82
	v_mul_f32_e32 v139, 0xbf7ee86f, v106
	v_fma_f32 v55, 0x3ee437d1, v51, -v100
	v_mul_f32_e32 v110, 0xbf7ee86f, v129
	v_add_f32_e32 v54, v85, v54
	v_add_f32_e32 v85, v86, v0
	v_fmamk_f32 v86, v38, 0x3dbcf732, v133
	v_mul_f32_e32 v136, 0xbe3c28d5, v108
	v_fma_f32 v118, 0x3dbcf732, v39, -v139
	v_mul_f32_e32 v142, 0xbe3c28d5, v109
	v_add_f32_e32 v3, v55, v3
	v_fmamk_f32 v55, v50, 0x3dbcf732, v110
	v_sub_f32_e32 v135, v20, v22
	v_add_f32_e32 v86, v86, v4
	v_fmamk_f32 v120, v40, 0xbf7ba420, v136
	v_add_f32_e32 v118, v118, v5
	v_fma_f32 v122, 0xbf7ba420, v41, -v142
	v_mul_f32_e32 v137, 0x3f763a35, v112
	v_mul_f32_e32 v144, 0x3f763a35, v113
	v_add_f32_e32 v55, v55, v53
	v_add_f32_e32 v53, v23, v21
	v_mul_f32_e32 v95, 0xbe3c28d5, v135
	v_add_f32_e32 v86, v120, v86
	v_add_f32_e32 v118, v122, v118
	v_fmamk_f32 v120, v42, 0xbe8c1d8e, v137
	v_fma_f32 v122, 0xbe8c1d8e, v43, -v144
	v_mul_f32_e32 v138, 0x3eb8f4ab, v116
	v_mul_f32_e32 v145, 0x3eb8f4ab, v117
	v_mul_f32_e32 v102, 0x3eb8f4ab, v132
	v_fma_f32 v0, 0xbf7ba420, v53, -v95
	v_add_f32_e32 v120, v120, v86
	v_add_f32_e32 v118, v122, v118
	v_fmamk_f32 v122, v44, 0x3f6eb680, v138
	v_fma_f32 v123, 0x3f6eb680, v45, -v145
	v_mul_f32_e32 v141, 0xbf65296c, v125
	v_mul_f32_e32 v146, 0xbf65296c, v126
	v_fmamk_f32 v115, v52, 0x3f6eb680, v102
	v_add_f32_e32 v86, v0, v1
	v_add_f32_e32 v0, v122, v120
	v_add_f32_e32 v1, v123, v118
	v_fmamk_f32 v118, v46, 0x3ee437d1, v141
	v_fma_f32 v120, 0x3ee437d1, v47, -v146
	v_mul_f32_e32 v143, 0xbf06c442, v127
	v_mul_f32_e32 v147, 0xbf06c442, v128
	v_add_f32_e32 v2, v115, v2
	v_add_f32_e32 v0, v118, v0
	;; [unrolled: 1-line block ×3, first 2 shown]
	v_fmamk_f32 v115, v48, 0xbf59a7d5, v143
	v_fma_f32 v118, 0xbf59a7d5, v49, -v147
	v_mul_f32_e32 v134, 0x3f4c4adb, v129
	v_mul_f32_e32 v148, 0x3f4c4adb, v131
	;; [unrolled: 1-line block ×5, first 2 shown]
	v_add_f32_e32 v0, v115, v0
	v_add_f32_e32 v1, v118, v1
	v_fmamk_f32 v115, v50, 0xbf1a4643, v134
	v_fma_f32 v118, 0xbf1a4643, v51, -v148
	v_mul_f32_e32 v130, 0x3f2c7751, v132
	v_mul_f32_e32 v140, 0x3f2c7751, v135
	v_fma_f32 v119, 0x3f6eb680, v53, -v104
	v_fmamk_f32 v120, v52, 0xbf59a7d5, v121
	v_fma_f32 v122, 0xbf59a7d5, v53, -v124
	v_add_f32_e32 v115, v115, v0
	v_add_f32_e32 v118, v118, v1
	v_fmamk_f32 v123, v52, 0x3f3d2fb0, v130
	v_fma_f32 v149, 0x3f3d2fb0, v53, -v140
	v_add_f32_e32 v3, v119, v3
	v_add_f32_e32 v0, v120, v55
	;; [unrolled: 1-line block ×5, first 2 shown]
	s_barrier
	buffer_gl0_inv
	s_and_saveexec_b32 s4, vcc_lo
	s_cbranch_execz .LBB0_7
; %bb.6:
	v_mul_f32_e32 v123, 0xbe3c28d5, v106
	v_mul_f32_e32 v122, 0x3eb8f4ab, v109
	;; [unrolled: 1-line block ×3, first 2 shown]
	v_add_f32_e32 v7, v7, v5
	v_mul_f32_e32 v119, 0x3f2c7751, v117
	v_fmamk_f32 v149, v39, 0xbf7ba420, v123
	v_fmamk_f32 v150, v41, 0x3f6eb680, v122
	v_add_f32_e32 v6, v6, v4
	v_add_f32_e32 v7, v33, v7
	v_fmamk_f32 v33, v43, 0xbf59a7d5, v120
	v_add_f32_e32 v149, v149, v5
	v_mul_f32_e32 v115, 0xbf4c4adb, v126
	v_add_f32_e32 v6, v32, v6
	v_add_f32_e32 v7, v35, v7
	v_fmamk_f32 v35, v45, 0x3f3d2fb0, v119
	v_add_f32_e32 v149, v150, v149
	v_mul_f32_e32 v118, 0xbe3c28d5, v103
	v_add_f32_e32 v6, v34, v6
	v_fmamk_f32 v34, v47, 0xbf1a4643, v115
	v_mul_f32_e32 v167, 0x3f65296c, v128
	v_add_f32_e32 v33, v33, v149
	v_mul_f32_e32 v153, 0x3eb8f4ab, v108
	v_fma_f32 v32, 0xbf7ba420, v38, -v118
	v_add_f32_e32 v7, v29, v7
	v_add_f32_e32 v6, v28, v6
	;; [unrolled: 1-line block ×3, first 2 shown]
	v_fmamk_f32 v28, v49, 0x3ee437d1, v167
	v_mul_f32_e32 v173, 0xbf763a35, v131
	v_mul_f32_e32 v169, 0xbf06c442, v103
	;; [unrolled: 1-line block ×3, first 2 shown]
	v_add_f32_e32 v33, v34, v33
	v_fma_f32 v150, 0x3f6eb680, v40, -v153
	v_add_f32_e32 v32, v32, v4
	v_add_f32_e32 v195, v31, v7
	v_fma_f32 v31, 0xbf59a7d5, v38, -v169
	v_add_f32_e32 v28, v28, v33
	v_fmamk_f32 v33, v51, 0xbe8c1d8e, v173
	v_mul_f32_e32 v170, 0x3f65296c, v108
	v_fma_f32 v149, 0xbf59a7d5, v42, -v151
	v_add_f32_e32 v32, v150, v32
	v_mul_f32_e32 v152, 0x3f2c7751, v116
	v_add_f32_e32 v194, v30, v6
	v_add_f32_e32 v6, v33, v28
	;; [unrolled: 1-line block ×3, first 2 shown]
	v_fma_f32 v33, 0x3ee437d1, v40, -v170
	v_mul_f32_e32 v171, 0xbf7ee86f, v112
	v_add_f32_e32 v32, v149, v32
	v_fma_f32 v149, 0x3f3d2fb0, v44, -v152
	v_mul_f32_e32 v35, 0xbf4c4adb, v125
	v_add_f32_e32 v31, v33, v31
	;; [unrolled: 3-line block ×7, first 2 shown]
	v_fma_f32 v29, 0xbe8c1d8e, v50, -v150
	v_mul_f32_e32 v164, 0x3f7ee86f, v135
	v_mul_f32_e32 v174, 0xbf06c442, v106
	;; [unrolled: 1-line block ×3, first 2 shown]
	v_add_f32_e32 v31, v33, v31
	v_fma_f32 v33, 0xbf7ba420, v48, -v163
	v_mul_f32_e32 v156, 0x3f2c7751, v129
	v_add_f32_e32 v28, v29, v7
	v_fmamk_f32 v7, v53, 0x3dbcf732, v164
	v_fmamk_f32 v29, v39, 0xbf59a7d5, v174
	v_mul_f32_e32 v182, 0x3f65296c, v109
	v_fma_f32 v30, 0x3dbcf732, v52, -v34
	v_add_f32_e32 v31, v33, v31
	v_fma_f32 v33, 0x3f3d2fb0, v50, -v156
	v_mul_f32_e32 v181, 0xbf4c4adb, v106
	v_add_f32_e32 v29, v29, v5
	v_fmamk_f32 v32, v41, 0x3ee437d1, v182
	v_mul_f32_e32 v175, 0xbf7ee86f, v113
	v_add_f32_e32 v7, v7, v6
	v_add_f32_e32 v6, v30, v28
	;; [unrolled: 1-line block ×3, first 2 shown]
	v_mul_f32_e32 v179, 0xbf4c4adb, v103
	v_fmamk_f32 v31, v39, 0xbf1a4643, v181
	v_mul_f32_e32 v189, 0x3f763a35, v109
	v_add_f32_e32 v29, v32, v29
	v_fmamk_f32 v32, v43, 0x3dbcf732, v175
	v_mul_f32_e32 v176, 0x3f4c4adb, v117
	v_fma_f32 v33, 0xbf1a4643, v38, -v179
	v_mul_f32_e32 v180, 0x3f763a35, v108
	v_add_f32_e32 v31, v31, v5
	v_fmamk_f32 v154, v41, 0xbe8c1d8e, v189
	v_mul_f32_e32 v190, 0xbeb8f4ab, v113
	v_add_f32_e32 v29, v32, v29
	v_fmamk_f32 v32, v45, 0xbf1a4643, v176
	v_mul_f32_e32 v177, 0xbeb8f4ab, v126
	v_add_f32_e32 v33, v33, v4
	v_fma_f32 v155, 0xbe8c1d8e, v40, -v180
	v_mul_f32_e32 v168, 0xbeb8f4ab, v112
	v_add_f32_e32 v31, v154, v31
	v_fmamk_f32 v154, v43, 0x3f6eb680, v190
	v_mul_f32_e32 v183, 0xbf06c442, v117
	v_add_f32_e32 v29, v32, v29
	v_fmamk_f32 v32, v47, 0x3f6eb680, v177
	v_mul_f32_e32 v178, 0xbe3c28d5, v128
	v_add_f32_e32 v33, v155, v33
	v_fma_f32 v155, 0x3f6eb680, v42, -v168
	v_mul_f32_e32 v159, 0xbf06c442, v116
	v_add_f32_e32 v31, v154, v31
	v_fmamk_f32 v154, v45, 0xbf59a7d5, v183
	v_mul_f32_e32 v184, 0x3f7ee86f, v126
	v_add_f32_e32 v29, v32, v29
	v_fmamk_f32 v32, v49, 0xbf7ba420, v178
	v_mul_f32_e32 v172, 0x3f2c7751, v131
	v_add_f32_e32 v33, v155, v33
	v_fma_f32 v155, 0xbf59a7d5, v44, -v159
	v_mul_f32_e32 v157, 0x3f7ee86f, v125
	v_add_f32_e32 v31, v154, v31
	v_fmamk_f32 v154, v47, 0x3dbcf732, v184
	v_mul_f32_e32 v185, 0xbf2c7751, v128
	v_add_f32_e32 v29, v32, v29
	v_fmamk_f32 v32, v51, 0x3f3d2fb0, v172
	v_mul_f32_e32 v165, 0xbf763a35, v135
	v_mul_f32_e32 v158, 0xbf763a35, v132
	v_add_f32_e32 v33, v155, v33
	v_fma_f32 v160, 0x3dbcf732, v46, -v157
	v_mul_f32_e32 v155, 0xbf2c7751, v127
	v_add_f32_e32 v31, v154, v31
	v_fmamk_f32 v186, v49, 0x3f3d2fb0, v185
	v_mul_f32_e32 v166, 0xbe3c28d5, v131
	v_add_f32_e32 v28, v32, v29
	v_fmamk_f32 v29, v53, 0xbe8c1d8e, v165
	v_fma_f32 v32, 0xbe8c1d8e, v52, -v158
	v_add_f32_e32 v33, v160, v33
	v_fma_f32 v160, 0x3f3d2fb0, v48, -v155
	v_mul_f32_e32 v154, 0xbe3c28d5, v129
	v_add_f32_e32 v31, v186, v31
	v_fmamk_f32 v186, v51, 0xbf7ba420, v166
	v_add_f32_e32 v29, v29, v28
	v_add_f32_e32 v33, v160, v33
	v_fma_f32 v187, 0xbf7ba420, v50, -v154
	v_add_f32_e32 v28, v32, v30
	v_add_f32_e32 v30, v186, v31
	v_mul_f32_e32 v188, 0xbf763a35, v106
	v_mul_f32_e32 v186, 0xbf763a35, v103
	v_add_f32_e32 v32, v187, v33
	v_mul_f32_e32 v191, 0x3f06c442, v109
	v_mul_f32_e32 v187, 0x3f06c442, v108
	v_fmamk_f32 v33, v39, 0xbe8c1d8e, v188
	v_fma_f32 v103, 0xbe8c1d8e, v38, -v186
	v_mul_f32_e32 v192, 0x3f2c7751, v113
	v_fmamk_f32 v108, v41, 0xbf59a7d5, v191
	v_fma_f32 v109, 0xbf59a7d5, v40, -v187
	v_add_f32_e32 v33, v33, v5
	v_add_f32_e32 v103, v103, v4
	v_mul_f32_e32 v113, 0x3f2c7751, v112
	v_mul_f32_e32 v193, 0xbf65296c, v117
	;; [unrolled: 1-line block ×3, first 2 shown]
	v_add_f32_e32 v33, v108, v33
	v_fmamk_f32 v108, v43, 0x3f3d2fb0, v192
	v_add_f32_e32 v103, v109, v103
	v_fma_f32 v109, 0x3f3d2fb0, v42, -v113
	v_mul_f32_e32 v126, 0xbe3c28d5, v126
	v_mul_f32_e32 v117, 0xbe3c28d5, v125
	v_add_f32_e32 v33, v108, v33
	v_fmamk_f32 v108, v45, 0x3ee437d1, v193
	v_add_f32_e32 v103, v109, v103
	v_fma_f32 v109, 0x3ee437d1, v44, -v116
	v_mul_f32_e32 v125, 0x3f7ee86f, v128
	v_fma_f32 v128, 0xbf7ba420, v46, -v117
	v_add_f32_e32 v33, v108, v33
	v_fmamk_f32 v108, v47, 0xbf7ba420, v126
	v_add_f32_e32 v112, v109, v103
	v_mul_f32_e32 v103, 0x3f7ee86f, v127
	v_mul_f32_e32 v160, 0x3f65296c, v135
	;; [unrolled: 1-line block ×3, first 2 shown]
	v_add_f32_e32 v33, v108, v33
	v_fmamk_f32 v127, v49, 0x3dbcf732, v125
	v_mul_f32_e32 v109, 0xbeb8f4ab, v131
	v_add_f32_e32 v128, v128, v112
	v_fma_f32 v131, 0x3dbcf732, v48, -v103
	v_mul_f32_e32 v108, 0xbeb8f4ab, v129
	v_fmamk_f32 v31, v53, 0x3ee437d1, v160
	v_fma_f32 v196, 0x3ee437d1, v52, -v106
	v_add_f32_e32 v33, v127, v33
	v_fmamk_f32 v127, v51, 0x3f6eb680, v109
	v_mul_f32_e32 v112, 0xbf4c4adb, v135
	v_add_f32_e32 v128, v131, v128
	v_fma_f32 v129, 0x3f6eb680, v50, -v108
	v_add_f32_e32 v31, v31, v30
	v_add_f32_e32 v33, v127, v33
	v_fmamk_f32 v131, v53, 0xbf1a4643, v112
	v_add_f32_e32 v30, v196, v32
	v_add_f32_e32 v32, v129, v128
	v_mul_f32_e32 v128, 0x3dbcf732, v39
	v_mul_f32_e32 v129, 0x3dbcf732, v38
	v_add_f32_e32 v33, v131, v33
	v_mul_f32_e32 v131, 0xbf7ba420, v41
	v_mul_f32_e32 v135, 0xbf7ba420, v40
	v_add_f32_e32 v128, v139, v128
	v_sub_f32_e32 v129, v129, v133
	v_mul_f32_e32 v133, 0xbe8c1d8e, v43
	v_add_f32_e32 v131, v142, v131
	v_sub_f32_e32 v135, v135, v136
	v_add_f32_e32 v128, v128, v5
	v_add_f32_e32 v129, v129, v4
	v_mul_f32_e32 v136, 0xbe8c1d8e, v42
	v_mul_f32_e32 v127, 0xbf4c4adb, v132
	v_add_f32_e32 v25, v25, v195
	v_add_f32_e32 v128, v131, v128
	;; [unrolled: 1-line block ×3, first 2 shown]
	v_mul_f32_e32 v133, 0x3f6eb680, v45
	v_add_f32_e32 v129, v135, v129
	v_sub_f32_e32 v135, v136, v137
	v_mul_f32_e32 v136, 0x3f6eb680, v44
	v_add_f32_e32 v128, v131, v128
	v_add_f32_e32 v131, v145, v133
	v_mul_f32_e32 v133, 0x3ee437d1, v47
	v_add_f32_e32 v129, v135, v129
	v_sub_f32_e32 v135, v136, v138
	v_mul_f32_e32 v136, 0x3ee437d1, v46
	v_add_f32_e32 v128, v131, v128
	v_add_f32_e32 v131, v146, v133
	;; [unrolled: 6-line block ×3, first 2 shown]
	v_fma_f32 v132, 0xbf1a4643, v52, -v127
	v_mul_f32_e32 v133, 0xbf1a4643, v51
	v_add_f32_e32 v129, v135, v129
	v_sub_f32_e32 v135, v136, v143
	v_add_f32_e32 v128, v131, v128
	v_mul_f32_e32 v131, 0xbf1a4643, v50
	v_add_f32_e32 v25, v27, v25
	v_add_f32_e32 v24, v24, v194
	;; [unrolled: 1-line block ×5, first 2 shown]
	v_mul_f32_e32 v133, 0x3ee437d1, v39
	v_sub_f32_e32 v131, v131, v134
	v_add_f32_e32 v21, v21, v25
	v_add_f32_e32 v24, v26, v24
	v_mul_f32_e32 v135, 0x3f3d2fb0, v53
	v_mul_f32_e32 v134, 0xbf1a4643, v41
	v_add_f32_e32 v76, v76, v133
	v_add_f32_e32 v129, v131, v129
	v_mul_f32_e32 v131, 0x3ee437d1, v38
	v_add_f32_e32 v21, v23, v21
	v_add_f32_e32 v23, v20, v24
	;; [unrolled: 1-line block ×6, first 2 shown]
	v_mul_f32_e32 v133, 0xbf7ba420, v43
	v_mul_f32_e32 v135, 0xbf1a4643, v40
	v_sub_f32_e32 v73, v131, v73
	v_add_f32_e32 v17, v17, v21
	v_add_f32_e32 v21, v22, v23
	v_fma_f32 v22, 0xbf7ba420, v39, -v123
	v_add_f32_e32 v76, v91, v76
	v_add_f32_e32 v91, v96, v133
	v_mul_f32_e32 v96, 0xbe8c1d8e, v45
	v_sub_f32_e32 v79, v135, v79
	v_add_f32_e32 v73, v73, v4
	v_mul_f32_e32 v131, 0xbf7ba420, v42
	v_add_f32_e32 v17, v19, v17
	v_add_f32_e32 v16, v16, v21
	;; [unrolled: 1-line block ×3, first 2 shown]
	v_fma_f32 v21, 0x3f6eb680, v41, -v122
	v_add_f32_e32 v76, v91, v76
	v_add_f32_e32 v91, v99, v96
	v_mul_f32_e32 v96, 0x3f3d2fb0, v47
	v_add_f32_e32 v73, v79, v73
	v_sub_f32_e32 v79, v131, v93
	v_mul_f32_e32 v93, 0xbe8c1d8e, v44
	v_add_f32_e32 v13, v13, v17
	v_add_f32_e32 v16, v18, v16
	;; [unrolled: 1-line block ×3, first 2 shown]
	v_fma_f32 v18, 0xbf59a7d5, v43, -v120
	v_mul_f32_e32 v134, 0x3f3d2fb0, v52
	v_add_f32_e32 v76, v91, v76
	v_add_f32_e32 v91, v105, v96
	v_mul_f32_e32 v96, 0x3f6eb680, v49
	v_add_f32_e32 v73, v79, v73
	v_sub_f32_e32 v79, v93, v98
	v_mul_f32_e32 v98, 0x3f3d2fb0, v46
	v_add_f32_e32 v13, v15, v13
	v_add_f32_e32 v12, v12, v16
	;; [unrolled: 1-line block ×3, first 2 shown]
	v_fma_f32 v16, 0x3f3d2fb0, v45, -v119
	v_sub_f32_e32 v93, v134, v130
	v_add_f32_e32 v76, v91, v76
	v_add_f32_e32 v91, v111, v96
	;; [unrolled: 1-line block ×3, first 2 shown]
	v_mul_f32_e32 v79, 0x3dbcf732, v51
	v_sub_f32_e32 v96, v98, v101
	v_mul_f32_e32 v98, 0x3f6eb680, v48
	v_add_f32_e32 v9, v9, v13
	v_add_f32_e32 v12, v14, v12
	;; [unrolled: 1-line block ×3, first 2 shown]
	v_fma_f32 v14, 0xbf1a4643, v47, -v115
	v_add_f32_e32 v76, v91, v76
	v_add_f32_e32 v79, v114, v79
	;; [unrolled: 1-line block ×3, first 2 shown]
	v_sub_f32_e32 v91, v98, v107
	v_add_f32_e32 v98, v93, v129
	v_mul_f32_e32 v93, 0x3f3d2fb0, v39
	v_fmac_f32_e32 v118, 0xbf7ba420, v38
	v_add_f32_e32 v8, v8, v12
	v_add_f32_e32 v12, v14, v13
	v_fma_f32 v13, 0x3ee437d1, v49, -v167
	v_add_f32_e32 v76, v79, v76
	v_mul_f32_e32 v79, 0x3dbcf732, v50
	v_add_f32_e32 v73, v91, v73
	v_mul_f32_e32 v91, 0x3dbcf732, v41
	;; [unrolled: 2-line block ×3, first 2 shown]
	v_add_f32_e32 v9, v11, v9
	v_add_f32_e32 v11, v118, v4
	v_fmac_f32_e32 v153, 0x3f6eb680, v40
	v_add_f32_e32 v8, v10, v8
	v_add_f32_e32 v10, v13, v12
	v_fma_f32 v12, 0xbe8c1d8e, v51, -v173
	v_fma_f32 v13, 0xbf59a7d5, v39, -v174
	v_sub_f32_e32 v79, v79, v110
	v_mul_f32_e32 v96, 0xbf59a7d5, v52
	v_add_f32_e32 v68, v68, v91
	v_add_f32_e32 v64, v64, v5
	;; [unrolled: 1-line block ×3, first 2 shown]
	v_mul_f32_e32 v93, 0xbf1a4643, v43
	v_add_f32_e32 v11, v153, v11
	v_fmac_f32_e32 v151, 0xbf59a7d5, v42
	v_add_f32_e32 v10, v12, v10
	v_add_f32_e32 v12, v13, v5
	v_fma_f32 v13, 0x3ee437d1, v41, -v182
	v_add_f32_e32 v73, v79, v73
	v_sub_f32_e32 v79, v96, v121
	v_add_f32_e32 v64, v68, v64
	v_mul_f32_e32 v68, 0x3f3d2fb0, v38
	v_add_f32_e32 v93, v70, v93
	v_mul_f32_e32 v96, 0xbf7ba420, v45
	v_add_f32_e32 v11, v151, v11
	v_fmac_f32_e32 v152, 0x3f3d2fb0, v44
	v_fmac_f32_e32 v169, 0xbf59a7d5, v38
	v_add_f32_e32 v12, v13, v12
	v_fma_f32 v13, 0x3dbcf732, v43, -v175
	v_add_f32_e32 v70, v91, v76
	v_mul_f32_e32 v76, 0x3dbcf732, v40
	v_sub_f32_e32 v61, v68, v61
	v_add_f32_e32 v64, v93, v64
	v_add_f32_e32 v68, v77, v96
	v_mul_f32_e32 v77, 0xbf59a7d5, v47
	v_add_f32_e32 v11, v152, v11
	v_fmac_f32_e32 v35, 0xbf1a4643, v46
	v_add_f32_e32 v15, v169, v4
	v_fmac_f32_e32 v170, 0x3ee437d1, v40
	v_add_f32_e32 v12, v13, v12
	v_fma_f32 v13, 0xbf1a4643, v45, -v176
	v_sub_f32_e32 v65, v76, v65
	v_add_f32_e32 v61, v61, v4
	v_mul_f32_e32 v76, 0xbf1a4643, v42
	v_add_f32_e32 v64, v68, v64
	v_add_f32_e32 v68, v83, v77
	v_mul_f32_e32 v77, 0xbe8c1d8e, v49
	v_fma_f32 v14, 0x3dbcf732, v53, -v164
	v_add_f32_e32 v11, v35, v11
	v_fmac_f32_e32 v149, 0x3ee437d1, v48
	v_add_f32_e32 v15, v170, v15
	v_fmac_f32_e32 v171, 0x3dbcf732, v42
	v_add_f32_e32 v12, v13, v12
	v_fma_f32 v13, 0x3f6eb680, v47, -v177
	v_add_f32_e32 v61, v65, v61
	v_sub_f32_e32 v65, v76, v69
	v_mul_f32_e32 v69, 0xbf7ba420, v44
	v_add_f32_e32 v64, v68, v64
	v_add_f32_e32 v68, v94, v77
	v_mul_f32_e32 v76, 0x3ee437d1, v51
	v_add_f32_e32 v16, v149, v11
	v_fmac_f32_e32 v150, 0xbe8c1d8e, v50
	v_add_f32_e32 v11, v14, v10
	v_add_f32_e32 v14, v171, v15
	v_fmac_f32_e32 v161, 0xbf1a4643, v44
	v_add_f32_e32 v12, v13, v12
	v_fma_f32 v13, 0xbf7ba420, v49, -v178
	v_fma_f32 v15, 0xbf1a4643, v39, -v181
	v_add_f32_e32 v61, v65, v61
	v_sub_f32_e32 v65, v69, v74
	v_mul_f32_e32 v74, 0xbf59a7d5, v46
	v_add_f32_e32 v64, v68, v64
	v_add_f32_e32 v68, v100, v76
	;; [unrolled: 1-line block ×4, first 2 shown]
	v_fmac_f32_e32 v162, 0x3f6eb680, v46
	v_add_f32_e32 v12, v13, v12
	v_fma_f32 v13, 0x3f3d2fb0, v51, -v172
	v_add_f32_e32 v15, v15, v5
	v_fma_f32 v16, 0xbe8c1d8e, v41, -v189
	v_add_f32_e32 v69, v79, v73
	v_add_f32_e32 v61, v65, v61
	v_sub_f32_e32 v65, v74, v80
	v_mul_f32_e32 v73, 0x3f6eb680, v39
	v_add_f32_e32 v64, v68, v64
	v_mul_f32_e32 v68, 0xbe8c1d8e, v48
	v_add_f32_e32 v14, v162, v14
	v_fmac_f32_e32 v163, 0xbf7ba420, v48
	v_add_f32_e32 v12, v13, v12
	v_add_f32_e32 v13, v16, v15
	v_fma_f32 v15, 0x3f6eb680, v43, -v190
	v_mul_f32_e32 v74, 0x3f3d2fb0, v41
	v_add_f32_e32 v61, v65, v61
	v_add_f32_e32 v57, v57, v73
	v_sub_f32_e32 v68, v68, v92
	v_mul_f32_e32 v73, 0x3ee437d1, v50
	v_add_f32_e32 v14, v163, v14
	v_fmac_f32_e32 v156, 0x3f3d2fb0, v50
	v_fmac_f32_e32 v179, 0xbf1a4643, v38
	v_add_f32_e32 v13, v15, v13
	v_fma_f32 v15, 0xbf59a7d5, v45, -v183
	v_add_f32_e32 v59, v59, v74
	v_add_f32_e32 v57, v57, v5
	v_mul_f32_e32 v74, 0x3ee437d1, v43
	v_add_f32_e32 v61, v68, v61
	v_sub_f32_e32 v68, v73, v97
	v_mul_f32_e32 v73, 0x3f6eb680, v38
	v_fma_f32 v16, 0xbe8c1d8e, v53, -v165
	v_add_f32_e32 v14, v156, v14
	v_add_f32_e32 v17, v179, v4
	v_fmac_f32_e32 v180, 0xbe8c1d8e, v40
	v_fmac_f32_e32 v158, 0xbe8c1d8e, v52
	v_add_f32_e32 v15, v15, v13
	v_fma_f32 v18, 0x3dbcf732, v47, -v184
	v_add_f32_e32 v57, v59, v57
	v_mul_f32_e32 v59, 0x3f6eb680, v52
	v_add_f32_e32 v62, v62, v74
	v_mul_f32_e32 v74, 0x3f3d2fb0, v40
	v_sub_f32_e32 v56, v73, v56
	v_add_f32_e32 v13, v16, v12
	v_add_f32_e32 v16, v180, v17
	;; [unrolled: 1-line block ×4, first 2 shown]
	v_fma_f32 v15, 0x3f3d2fb0, v49, -v185
	v_fma_f32 v17, 0xbe8c1d8e, v39, -v188
	v_mul_f32_e32 v65, 0x3f6eb680, v53
	v_add_f32_e32 v61, v68, v61
	v_sub_f32_e32 v59, v59, v102
	v_mul_f32_e32 v76, 0x3ee437d1, v42
	v_add_f32_e32 v56, v56, v4
	v_sub_f32_e32 v58, v74, v58
	v_fmac_f32_e32 v186, 0xbe8c1d8e, v38
	v_add_f32_e32 v14, v15, v14
	v_add_f32_e32 v5, v17, v5
	v_fma_f32 v15, 0xbf59a7d5, v41, -v191
	v_add_f32_e32 v65, v104, v65
	v_mul_f32_e32 v68, 0x3dbcf732, v45
	v_add_f32_e32 v61, v59, v61
	v_mul_f32_e32 v59, 0x3dbcf732, v44
	v_add_f32_e32 v56, v58, v56
	v_sub_f32_e32 v58, v76, v60
	v_add_f32_e32 v4, v186, v4
	v_fmac_f32_e32 v187, 0xbf59a7d5, v40
	v_add_f32_e32 v5, v15, v5
	v_fma_f32 v15, 0x3f3d2fb0, v43, -v192
	v_add_f32_e32 v57, v62, v57
	v_add_f32_e32 v66, v66, v68
	v_mul_f32_e32 v68, 0xbe8c1d8e, v47
	v_add_f32_e32 v62, v65, v64
	v_mul_f32_e32 v64, 0xbe8c1d8e, v46
	v_add_f32_e32 v56, v58, v56
	v_sub_f32_e32 v25, v59, v63
	v_fmac_f32_e32 v168, 0x3f6eb680, v42
	v_add_f32_e32 v4, v187, v4
	v_fmac_f32_e32 v113, 0x3f3d2fb0, v42
	v_add_f32_e32 v5, v15, v5
	v_fma_f32 v15, 0x3ee437d1, v45, -v193
	v_add_f32_e32 v57, v66, v57
	v_add_f32_e32 v65, v72, v68
	v_mul_f32_e32 v66, 0xbf1a4643, v48
	v_mul_f32_e32 v68, 0xbf1a4643, v49
	v_add_f32_e32 v24, v25, v56
	v_sub_f32_e32 v25, v64, v67
	v_add_f32_e32 v16, v168, v16
	v_fmac_f32_e32 v159, 0xbf59a7d5, v44
	v_add_f32_e32 v4, v113, v4
	v_fmac_f32_e32 v116, 0x3ee437d1, v44
	v_add_f32_e32 v5, v15, v5
	v_fma_f32 v15, 0xbf7ba420, v47, -v126
	v_mul_f32_e32 v72, 0xbf59a7d5, v50
	v_add_f32_e32 v57, v65, v57
	v_mul_f32_e32 v65, 0xbf59a7d5, v51
	v_add_f32_e32 v68, v75, v68
	v_add_f32_e32 v23, v25, v24
	v_sub_f32_e32 v24, v66, v71
	v_add_f32_e32 v16, v159, v16
	v_fmac_f32_e32 v157, 0x3dbcf732, v46
	v_add_f32_e32 v4, v116, v4
	v_fmac_f32_e32 v117, 0xbf7ba420, v46
	v_add_f32_e32 v5, v15, v5
	v_fma_f32 v15, 0x3dbcf732, v49, -v125
	v_mul_f32_e32 v73, 0xbf7ba420, v52
	v_mul_f32_e32 v74, 0xbf7ba420, v53
	v_add_f32_e32 v27, v68, v57
	v_add_f32_e32 v57, v81, v65
	;; [unrolled: 1-line block ×3, first 2 shown]
	v_sub_f32_e32 v23, v72, v78
	v_add_f32_e32 v16, v157, v16
	v_fmac_f32_e32 v155, 0x3f3d2fb0, v48
	v_add_f32_e32 v4, v117, v4
	v_fmac_f32_e32 v103, 0x3dbcf732, v48
	v_add_f32_e32 v5, v15, v5
	v_mul_lo_u16 v15, v88, 17
	v_add_f32_e32 v26, v57, v27
	v_add_f32_e32 v27, v95, v74
	;; [unrolled: 1-line block ×3, first 2 shown]
	v_sub_f32_e32 v21, v73, v82
	v_fma_f32 v17, 0xbf7ba420, v51, -v166
	v_add_f32_e32 v16, v155, v16
	v_fmac_f32_e32 v154, 0xbf7ba420, v50
	v_fma_f32 v18, 0x3f6eb680, v51, -v109
	v_add_f32_e32 v4, v103, v4
	v_fmac_f32_e32 v108, 0x3f6eb680, v50
	v_and_b32_e32 v15, 0xffff, v15
	v_fmac_f32_e32 v34, 0x3dbcf732, v52
	v_add_f32_e32 v20, v27, v26
	v_add_f32_e32 v19, v21, v19
	;; [unrolled: 1-line block ×5, first 2 shown]
	v_fma_f32 v17, 0x3ee437d1, v53, -v160
	v_add_f32_e32 v16, v154, v16
	v_fmac_f32_e32 v106, 0x3ee437d1, v52
	v_add_f32_e32 v18, v18, v5
	v_fma_f32 v21, 0xbf1a4643, v53, -v112
	v_add_f32_e32 v22, v108, v4
	v_fmac_f32_e32 v127, 0xbf1a4643, v52
	v_add_lshl_u32 v23, v89, v15, 3
	v_add_f32_e32 v99, v132, v128
	v_add_f32_e32 v10, v34, v10
	;; [unrolled: 1-line block ×6, first 2 shown]
	ds_write2_b64 v23, v[8:9], v[19:20] offset1:1
	ds_write2_b64 v23, v[61:62], v[69:70] offset0:2 offset1:3
	ds_write2_b64 v23, v[98:99], v[32:33] offset0:4 offset1:5
	;; [unrolled: 1-line block ×7, first 2 shown]
	ds_write_b64 v23, v[85:86] offset:128
.LBB0_7:
	s_or_b32 exec_lo, exec_lo, s4
	v_and_b32_e32 v4, 0xff, v88
	v_mov_b32_e32 v5, 12
	s_load_dwordx4 s[4:7], s[0:1], 0x0
	s_waitcnt lgkmcnt(0)
	s_barrier
	v_mul_lo_u16 v4, 0xf1, v4
	buffer_gl0_inv
	v_add_lshl_u32 v91, v89, v88, 3
	v_cmp_gt_u16_e64 s0, 51, v88
	v_lshrrev_b16 v9, 12, v4
	v_add_nc_u32_e32 v10, 0x800, v91
	v_add_nc_u32_e32 v36, 0xc00, v91
	;; [unrolled: 1-line block ×3, first 2 shown]
	v_mul_lo_u16 v4, v9, 17
	v_sub_nc_u16 v8, v88, v4
	v_mul_u32_u24_sdwa v4, v8, v5 dst_sel:DWORD dst_unused:UNUSED_PAD src0_sel:BYTE_0 src1_sel:DWORD
	v_lshlrev_b32_e32 v4, 3, v4
	s_clause 0x5
	global_load_dwordx4 v[32:35], v4, s[2:3]
	global_load_dwordx4 v[28:31], v4, s[2:3] offset:16
	global_load_dwordx4 v[20:23], v4, s[2:3] offset:32
	;; [unrolled: 1-line block ×5, first 2 shown]
	ds_read2_b64 v[4:7], v91 offset1:85
	ds_read2_b64 v[56:59], v10 offset0:84 offset1:169
	v_add_nc_u32_e32 v10, 0x1800, v91
	ds_read2_b64 v[44:47], v91 offset0:170 offset1:255
	ds_read2_b64 v[60:63], v36 offset0:126 offset1:211
	;; [unrolled: 1-line block ×4, first 2 shown]
	ds_read_b64 v[72:73], v91 offset:8160
	s_waitcnt vmcnt(0) lgkmcnt(0)
	s_barrier
	buffer_gl0_inv
	v_mul_f32_e32 v53, v6, v33
	v_mul_f32_e32 v48, v7, v33
	;; [unrolled: 1-line block ×7, first 2 shown]
	v_fmac_f32_e32 v53, v7, v32
	v_mul_f32_e32 v52, v47, v29
	v_mul_f32_e32 v75, v46, v29
	;; [unrolled: 1-line block ×7, first 2 shown]
	v_fma_f32 v93, v6, v32, -v48
	v_fma_f32 v94, v44, v34, -v51
	v_fmac_f32_e32 v74, v45, v34
	v_fmac_f32_e32 v50, v57, v30
	v_fma_f32 v44, v72, v18, -v92
	v_fmac_f32_e32 v42, v73, v18
	v_add_f32_e32 v57, v5, v53
	v_mul_f32_e32 v77, v59, v21
	v_mul_f32_e32 v37, v60, v23
	;; [unrolled: 1-line block ×9, first 2 shown]
	v_fma_f32 v95, v46, v28, -v52
	v_fmac_f32_e32 v75, v47, v28
	v_fma_f32 v52, v56, v30, -v76
	v_fmac_f32_e32 v49, v59, v20
	v_fma_f32 v6, v60, v22, -v78
	v_fma_f32 v45, v70, v16, -v83
	v_fmac_f32_e32 v41, v71, v16
	v_add_f32_e32 v56, v4, v93
	v_add_f32_e32 v59, v53, v42
	v_sub_f32_e32 v60, v93, v44
	v_sub_f32_e32 v53, v53, v42
	v_add_f32_e32 v57, v57, v74
	v_mul_f32_e32 v43, v64, v15
	v_fma_f32 v51, v58, v20, -v77
	v_fmac_f32_e32 v37, v61, v22
	v_fma_f32 v7, v62, v12, -v79
	v_fmac_f32_e32 v38, v63, v12
	v_fma_f32 v48, v64, v14, -v80
	v_fma_f32 v47, v66, v24, -v81
	v_fmac_f32_e32 v39, v67, v24
	v_fma_f32 v46, v68, v26, -v82
	v_fmac_f32_e32 v40, v69, v26
	v_add_f32_e32 v58, v93, v44
	v_add_f32_e32 v61, v94, v45
	;; [unrolled: 1-line block ×3, first 2 shown]
	v_sub_f32_e32 v63, v94, v45
	v_sub_f32_e32 v64, v74, v41
	v_add_f32_e32 v56, v56, v94
	v_mul_f32_e32 v74, 0xbeedf032, v53
	v_mul_f32_e32 v81, 0xbeedf032, v60
	;; [unrolled: 1-line block ×12, first 2 shown]
	v_add_f32_e32 v57, v57, v75
	v_fmac_f32_e32 v43, v65, v14
	v_add_f32_e32 v65, v95, v46
	v_add_f32_e32 v66, v75, v40
	v_sub_f32_e32 v67, v95, v46
	v_sub_f32_e32 v68, v75, v40
	v_add_f32_e32 v70, v50, v39
	v_sub_f32_e32 v72, v50, v39
	v_mul_f32_e32 v99, 0xbf52af12, v64
	v_mul_f32_e32 v100, 0xbf52af12, v63
	;; [unrolled: 1-line block ×12, first 2 shown]
	v_add_f32_e32 v56, v56, v95
	v_fma_f32 v75, 0x3f62ad3f, v58, -v74
	v_fmamk_f32 v95, v59, 0x3f62ad3f, v81
	v_fmac_f32_e32 v74, 0x3f62ad3f, v58
	v_fma_f32 v81, 0x3f62ad3f, v59, -v81
	v_fma_f32 v140, 0x3f116cb1, v58, -v82
	v_fmamk_f32 v141, v59, 0x3f116cb1, v83
	v_fmac_f32_e32 v82, 0x3f116cb1, v58
	v_fma_f32 v83, 0x3f116cb1, v59, -v83
	;; [unrolled: 4-line block ×6, first 2 shown]
	v_add_f32_e32 v50, v57, v50
	v_add_f32_e32 v69, v52, v47
	v_sub_f32_e32 v71, v52, v47
	v_add_f32_e32 v76, v49, v43
	v_sub_f32_e32 v78, v49, v43
	v_mul_f32_e32 v109, 0xbf7e222b, v68
	v_mul_f32_e32 v110, 0xbf7e222b, v67
	;; [unrolled: 1-line block ×12, first 2 shown]
	v_fma_f32 v59, 0x3f116cb1, v61, -v99
	v_fmac_f32_e32 v99, 0x3f116cb1, v61
	v_fma_f32 v150, 0xbeb58ec6, v61, -v101
	v_fmac_f32_e32 v101, 0xbeb58ec6, v61
	;; [unrolled: 2-line block ×6, first 2 shown]
	v_fma_f32 v61, 0x3f62ad3f, v62, -v63
	v_add_f32_e32 v52, v56, v52
	v_add_f32_e32 v56, v4, v75
	;; [unrolled: 1-line block ×15, first 2 shown]
	v_mul_f32_e32 v119, 0xbf6f5d39, v72
	v_mul_f32_e32 v120, 0xbf6f5d39, v71
	;; [unrolled: 1-line block ×12, first 2 shown]
	v_fmamk_f32 v60, v62, 0x3f116cb1, v100
	v_fma_f32 v100, 0x3f116cb1, v62, -v100
	v_fmamk_f32 v151, v62, 0xbeb58ec6, v102
	v_fma_f32 v102, 0xbeb58ec6, v62, -v102
	;; [unrolled: 2-line block ×6, first 2 shown]
	v_fmac_f32_e32 v109, 0x3df6dbef, v65
	v_fma_f32 v160, 0xbf788fa5, v65, -v111
	v_fmac_f32_e32 v111, 0xbf788fa5, v65
	v_fma_f32 v162, 0xbeb58ec6, v65, -v113
	;; [unrolled: 2-line block ×6, first 2 shown]
	v_add_f32_e32 v74, v4, v74
	v_add_f32_e32 v81, v4, v140
	;; [unrolled: 1-line block ×10, first 2 shown]
	v_sub_f32_e32 v77, v51, v48
	v_fmamk_f32 v63, v66, 0x3df6dbef, v110
	v_fma_f32 v110, 0x3df6dbef, v66, -v110
	v_fmamk_f32 v161, v66, 0xbf788fa5, v112
	v_fma_f32 v112, 0xbf788fa5, v66, -v112
	;; [unrolled: 2-line block ×6, first 2 shown]
	v_fmac_f32_e32 v119, 0xbeb58ec6, v69
	v_fma_f32 v170, 0xbf3f9e67, v69, -v121
	v_fmac_f32_e32 v121, 0xbf3f9e67, v69
	v_fma_f32 v172, 0x3f62ad3f, v69, -v123
	;; [unrolled: 2-line block ×6, first 2 shown]
	v_add_f32_e32 v144, v4, v146
	v_add_f32_e32 v97, v4, v97
	v_add_f32_e32 v146, v4, v148
	v_add_f32_e32 v4, v4, v53
	v_add_f32_e32 v51, v52, v51
	v_add_f32_e32 v50, v59, v56
	v_add_f32_e32 v52, v60, v57
	v_add_f32_e32 v53, v99, v74
	v_add_f32_e32 v56, v100, v75
	v_add_f32_e32 v57, v150, v81
	v_add_f32_e32 v59, v101, v82
	v_add_f32_e32 v60, v102, v83
	v_add_f32_e32 v74, v152, v140
	v_add_f32_e32 v75, v153, v141
	v_add_f32_e32 v81, v103, v92
	v_add_f32_e32 v82, v104, v93
	v_add_f32_e32 v83, v154, v142
	v_add_f32_e32 v92, v155, v143
	v_add_f32_e32 v93, v105, v94
	v_add_f32_e32 v94, v106, v96
	v_add_f32_e32 v96, v157, v145
	v_add_f32_e32 v5, v65, v5
	v_add_f32_e32 v49, v49, v38
	v_mul_f32_e32 v131, 0x3f7e222b, v78
	v_mul_f32_e32 v132, 0x3f7e222b, v77
	;; [unrolled: 1-line block ×6, first 2 shown]
	v_fmamk_f32 v67, v70, 0xbeb58ec6, v120
	v_fmamk_f32 v171, v70, 0xbf3f9e67, v122
	v_fma_f32 v122, 0xbf3f9e67, v70, -v122
	v_fmamk_f32 v173, v70, 0x3f62ad3f, v124
	v_fma_f32 v124, 0x3f62ad3f, v70, -v124
	v_fmamk_f32 v175, v70, 0x3df6dbef, v126
	v_fmamk_f32 v177, v70, 0xbf788fa5, v128
	v_add_f32_e32 v4, v64, v4
	v_add_f32_e32 v51, v51, v6
	;; [unrolled: 1-line block ×17, first 2 shown]
	v_sub_f32_e32 v80, v37, v38
	v_mul_f32_e32 v129, 0xbf29c268, v78
	v_fma_f32 v180, 0x3df6dbef, v73, -v131
	v_fmamk_f32 v181, v76, 0x3df6dbef, v132
	v_fmac_f32_e32 v131, 0x3df6dbef, v73
	v_fma_f32 v132, 0x3df6dbef, v76, -v132
	v_fma_f32 v182, 0x3f116cb1, v73, -v133
	v_fmamk_f32 v183, v76, 0x3f116cb1, v134
	v_fmac_f32_e32 v133, 0x3f116cb1, v73
	v_fma_f32 v134, 0x3f116cb1, v76, -v134
	v_fma_f32 v184, 0xbf788fa5, v73, -v135
	v_fmac_f32_e32 v135, 0xbf788fa5, v73
	v_fmamk_f32 v187, v76, 0x3f62ad3f, v138
	v_add_f32_e32 v58, v151, v95
	v_add_f32_e32 v4, v68, v4
	;; [unrolled: 1-line block ×18, first 2 shown]
	v_mul_f32_e32 v130, 0xbf29c268, v77
	v_mul_f32_e32 v136, 0x3e750f2a, v77
	;; [unrolled: 1-line block ×6, first 2 shown]
	v_fma_f32 v120, 0xbeb58ec6, v70, -v120
	v_fma_f32 v126, 0x3df6dbef, v70, -v126
	;; [unrolled: 1-line block ×3, first 2 shown]
	v_fmamk_f32 v179, v70, 0x3f116cb1, v71
	v_fma_f32 v70, 0xbf3f9e67, v73, -v129
	v_add_f32_e32 v56, v110, v56
	v_add_f32_e32 v58, v161, v58
	;; [unrolled: 1-line block ×15, first 2 shown]
	v_sub_f32_e32 v75, v6, v7
	v_fmamk_f32 v71, v76, 0xbf3f9e67, v130
	v_fmac_f32_e32 v129, 0xbf3f9e67, v73
	v_fma_f32 v130, 0xbf3f9e67, v76, -v130
	v_fma_f32 v186, 0x3f62ad3f, v73, -v137
	v_fmac_f32_e32 v137, 0x3f62ad3f, v73
	v_fma_f32 v188, 0xbeb58ec6, v73, -v78
	v_add_f32_e32 v53, v109, v53
	v_add_f32_e32 v56, v120, v56
	v_add_f32_e32 v58, v171, v58
	v_add_f32_e32 v43, v70, v50
	v_add_f32_e32 v4, v4, v47
	v_add_f32_e32 v5, v5, v41
	v_fmac_f32_e32 v78, 0xbeb58ec6, v73
	v_fma_f32 v6, 0xbeb58ec6, v76, -v77
	v_fma_f32 v7, 0xbf788fa5, v79, -v139
	v_add_f32_e32 v73, v37, v38
	v_mul_f32_e32 v37, 0xbe750f2a, v75
	v_mul_f32_e32 v39, 0x3eedf032, v80
	;; [unrolled: 1-line block ×3, first 2 shown]
	v_add_f32_e32 v95, v156, v144
	v_add_f32_e32 v53, v119, v53
	;; [unrolled: 1-line block ×8, first 2 shown]
	v_fmamk_f32 v7, v73, 0xbf788fa5, v37
	v_fma_f32 v37, 0xbf788fa5, v73, -v37
	v_fma_f32 v40, 0x3f62ad3f, v79, -v39
	v_fmamk_f32 v41, v73, 0x3f62ad3f, v38
	v_fmac_f32_e32 v39, 0x3f62ad3f, v79
	v_mul_f32_e32 v42, 0xbf29c268, v80
	v_add_f32_e32 v82, v116, v94
	v_add_f32_e32 v83, v166, v95
	;; [unrolled: 1-line block ×7, first 2 shown]
	v_fma_f32 v40, 0x3f62ad3f, v73, -v38
	v_add_f32_e32 v38, v41, v56
	v_mul_f32_e32 v41, 0xbf29c268, v75
	v_add_f32_e32 v58, v39, v57
	v_fma_f32 v39, 0xbf3f9e67, v79, -v42
	v_mul_f32_e32 v43, 0x3f52af12, v80
	v_fmac_f32_e32 v42, 0xbf3f9e67, v79
	v_fmamk_f32 v185, v76, 0xbf788fa5, v136
	v_fma_f32 v136, 0xbf788fa5, v76, -v136
	v_add_f32_e32 v68, v126, v82
	v_add_f32_e32 v74, v176, v83
	;; [unrolled: 1-line block ×5, first 2 shown]
	v_fmamk_f32 v40, v73, 0xbf3f9e67, v41
	v_fma_f32 v41, 0xbf3f9e67, v73, -v41
	v_fma_f32 v44, 0x3f116cb1, v79, -v43
	v_add_f32_e32 v56, v42, v62
	v_mul_f32_e32 v42, 0x3f52af12, v75
	v_mul_f32_e32 v48, 0xbf6f5d39, v80
	v_add_f32_e32 v97, v107, v97
	v_add_f32_e32 v98, v108, v98
	v_fmac_f32_e32 v139, 0xbf788fa5, v79
	v_add_f32_e32 v47, v185, v66
	v_add_f32_e32 v66, v136, v68
	;; [unrolled: 1-line block ×5, first 2 shown]
	v_fmamk_f32 v44, v73, 0x3f116cb1, v42
	v_fma_f32 v45, 0x3f116cb1, v73, -v42
	v_fma_f32 v50, 0xbeb58ec6, v79, -v48
	v_add_f32_e32 v99, v158, v146
	v_add_f32_e32 v100, v159, v147
	v_add_f32_e32 v93, v117, v97
	v_add_f32_e32 v94, v118, v98
	v_add_f32_e32 v52, v139, v49
	v_mul_f32_e32 v49, 0xbf6f5d39, v75
	v_add_f32_e32 v42, v44, v47
	v_add_f32_e32 v44, v45, v66
	;; [unrolled: 1-line block ×3, first 2 shown]
	v_mov_b32_e32 v50, 0xdd
	v_fma_f32 v138, 0x3f62ad3f, v76, -v138
	v_add_f32_e32 v95, v168, v99
	v_add_f32_e32 v96, v169, v100
	;; [unrolled: 1-line block ×4, first 2 shown]
	v_fmamk_f32 v51, v73, 0xbeb58ec6, v49
	v_mul_u32_u24_sdwa v9, v9, v50 dst_sel:DWORD dst_unused:UNUSED_PAD src0_sel:WORD_0 src1_sel:DWORD
	v_fmamk_f32 v189, v76, 0xbeb58ec6, v77
	v_add_f32_e32 v83, v178, v95
	v_add_f32_e32 v92, v179, v96
	v_add_f32_e32 v68, v137, v81
	v_add_f32_e32 v70, v138, v82
	v_add_f32_e32 v39, v39, v60
	v_add_f32_e32 v46, v51, v67
	v_fmac_f32_e32 v48, 0xbeb58ec6, v79
	v_fma_f32 v49, 0xbeb58ec6, v73, -v49
	v_mul_f32_e32 v51, 0x3f7e222b, v80
	v_mul_f32_e32 v60, 0x3f7e222b, v75
	v_add_f32_e32 v40, v40, v61
	v_add_nc_u32_sdwa v61, v9, v8 dst_sel:DWORD dst_unused:UNUSED_PAD src0_sel:DWORD src1_sel:BYTE_0
	v_add_f32_e32 v71, v188, v83
	v_add_f32_e32 v74, v189, v92
	;; [unrolled: 1-line block ×5, first 2 shown]
	v_fma_f32 v49, 0x3df6dbef, v79, -v51
	v_fmamk_f32 v50, v73, 0x3df6dbef, v60
	v_fmac_f32_e32 v51, 0x3df6dbef, v79
	v_fma_f32 v60, 0x3df6dbef, v73, -v60
	v_fmac_f32_e32 v43, 0x3f116cb1, v79
	v_add_lshl_u32 v93, v89, v61, 3
	v_add_f32_e32 v8, v49, v71
	v_add_f32_e32 v9, v50, v74
	;; [unrolled: 1-line block ×5, first 2 shown]
	ds_write2_b64 v93, v[4:5], v[6:7] offset1:17
	ds_write2_b64 v93, v[37:38], v[39:40] offset0:34 offset1:51
	ds_write2_b64 v93, v[41:42], v[45:46] offset0:68 offset1:85
	;; [unrolled: 1-line block ×5, first 2 shown]
	ds_write_b64 v93, v[52:53] offset:1632
	v_add_nc_u32_e32 v4, 0x400, v91
	s_waitcnt lgkmcnt(0)
	s_barrier
	buffer_gl0_inv
	ds_read2_b64 v[60:63], v91 offset1:85
	ds_read2_b64 v[64:67], v4 offset0:93 offset1:178
	ds_read2_b64 v[68:71], v36 offset0:58 offset1:143
	;; [unrolled: 1-line block ×4, first 2 shown]
	s_and_saveexec_b32 s1, s0
	s_cbranch_execz .LBB0_9
; %bb.8:
	v_add_nc_u32_e32 v0, 0x500, v91
	v_add_nc_u32_e32 v1, 0x1300, v91
	ds_read2_b64 v[56:59], v0 offset0:10 offset1:231
	ds_read2_b64 v[52:55], v1 offset0:4 offset1:225
	ds_read_b64 v[0:1], v91 offset:8432
.LBB0_9:
	s_or_b32 exec_lo, exec_lo, s1
	v_lshlrev_b32_e32 v4, 5, v88
	v_lshl_add_u32 v92, v88, 3, v90
	v_add_nc_u32_e32 v94, v87, v90
	s_clause 0x1
	global_load_dwordx4 v[44:47], v4, s[2:3] offset:1632
	global_load_dwordx4 v[40:43], v4, s[2:3] offset:1648
	v_add_nc_u32_e32 v4, 0xaa0, v4
	v_add_nc_u32_e32 v95, 0x600, v92
	;; [unrolled: 1-line block ×4, first 2 shown]
	s_clause 0x1
	global_load_dwordx4 v[48:51], v4, s[2:3] offset:1632
	global_load_dwordx4 v[36:39], v4, s[2:3] offset:1648
	v_add_co_u32 v4, s1, 0xaa, v88
	v_add_co_ci_u32_e64 v5, null, 0, 0, s1
	v_add_co_u32 v6, s1, 0xffffffcd, v88
	v_add_co_ci_u32_e64 v7, null, 0, -1, s1
	v_add_nc_u32_e32 v98, 0x1700, v94
	v_cndmask_b32_e64 v4, v6, v4, s0
	v_cndmask_b32_e64 v5, v7, v5, s0
	v_lshlrev_b64 v[4:5], 5, v[4:5]
	v_add_co_u32 v4, s1, s2, v4
	v_add_co_ci_u32_e64 v5, s1, s3, v5, s1
	s_clause 0x1
	global_load_dwordx4 v[8:11], v[4:5], off offset:1632
	global_load_dwordx4 v[4:7], v[4:5], off offset:1648
	s_waitcnt vmcnt(5) lgkmcnt(3)
	v_mul_f32_e32 v80, v65, v45
	v_mul_f32_e32 v81, v64, v45
	s_waitcnt lgkmcnt(2)
	v_mul_f32_e32 v82, v69, v47
	v_mul_f32_e32 v83, v68, v47
	s_waitcnt vmcnt(4) lgkmcnt(1)
	v_mul_f32_e32 v99, v73, v41
	v_mul_f32_e32 v100, v72, v41
	s_waitcnt lgkmcnt(0)
	v_mul_f32_e32 v101, v77, v43
	v_mul_f32_e32 v102, v76, v43
	v_fma_f32 v64, v64, v44, -v80
	v_fmac_f32_e32 v81, v65, v44
	v_fma_f32 v65, v68, v46, -v82
	v_fmac_f32_e32 v83, v69, v46
	v_fma_f32 v72, v72, v40, -v99
	v_fmac_f32_e32 v100, v73, v40
	v_fma_f32 v73, v76, v42, -v101
	v_fmac_f32_e32 v102, v77, v42
	s_waitcnt vmcnt(3)
	v_mul_f32_e32 v68, v67, v49
	v_mul_f32_e32 v76, v66, v49
	;; [unrolled: 1-line block ×4, first 2 shown]
	s_waitcnt vmcnt(2)
	v_mul_f32_e32 v80, v75, v37
	v_mul_f32_e32 v82, v74, v37
	;; [unrolled: 1-line block ×4, first 2 shown]
	v_fma_f32 v103, v66, v48, -v68
	v_fmac_f32_e32 v76, v67, v48
	v_fma_f32 v70, v70, v50, -v69
	v_fmac_f32_e32 v77, v71, v50
	;; [unrolled: 2-line block ×3, first 2 shown]
	v_fma_f32 v80, v78, v38, -v99
	v_add_f32_e32 v66, v60, v64
	v_add_f32_e32 v67, v65, v72
	v_sub_f32_e32 v69, v64, v65
	v_sub_f32_e32 v74, v73, v72
	v_add_f32_e32 v75, v64, v73
	v_sub_f32_e32 v99, v65, v64
	v_sub_f32_e32 v104, v72, v73
	;; [unrolled: 3-line block ×3, first 2 shown]
	v_sub_f32_e32 v109, v102, v100
	v_add_f32_e32 v110, v81, v102
	v_fmac_f32_e32 v101, v79, v38
	v_sub_f32_e32 v78, v81, v102
	v_sub_f32_e32 v79, v83, v100
	v_add_f32_e32 v106, v83, v100
	v_sub_f32_e32 v108, v65, v72
	v_sub_f32_e32 v81, v83, v81
	;; [unrolled: 1-line block ×3, first 2 shown]
	v_add_f32_e32 v65, v66, v65
	v_fma_f32 v68, -0.5, v67, v60
	v_add_f32_e32 v112, v69, v74
	v_fma_f32 v66, -0.5, v75, v60
	v_add_f32_e32 v99, v99, v104
	v_add_f32_e32 v74, v105, v83
	;; [unrolled: 1-line block ×3, first 2 shown]
	v_fma_f32 v67, -0.5, v110, v61
	v_add_f32_e32 v75, v62, v103
	v_add_f32_e32 v104, v70, v71
	v_sub_f32_e32 v109, v103, v70
	v_sub_f32_e32 v110, v80, v71
	;; [unrolled: 1-line block ×4, first 2 shown]
	v_add_f32_e32 v115, v63, v76
	s_waitcnt vmcnt(1)
	v_mul_f32_e32 v122, v59, v9
	v_mul_f32_e32 v123, v58, v9
	;; [unrolled: 1-line block ×4, first 2 shown]
	s_waitcnt vmcnt(0)
	v_mul_f32_e32 v126, v55, v5
	v_mul_f32_e32 v127, v54, v5
	;; [unrolled: 1-line block ×4, first 2 shown]
	v_fma_f32 v69, -0.5, v106, v61
	v_add_f32_e32 v81, v81, v111
	v_sub_f32_e32 v105, v76, v101
	v_sub_f32_e32 v106, v77, v82
	v_add_f32_e32 v111, v103, v80
	v_add_f32_e32 v116, v77, v82
	v_sub_f32_e32 v117, v70, v71
	v_sub_f32_e32 v118, v76, v77
	v_add_f32_e32 v120, v76, v101
	v_sub_f32_e32 v76, v77, v76
	v_sub_f32_e32 v121, v82, v101
	v_add_f32_e32 v72, v65, v72
	v_add_f32_e32 v100, v74, v100
	v_fmamk_f32 v65, v108, 0x3f737871, v67
	v_fmac_f32_e32 v67, 0xbf737871, v108
	v_add_f32_e32 v70, v75, v70
	v_fma_f32 v74, -0.5, v104, v62
	v_add_f32_e32 v104, v109, v110
	v_add_f32_e32 v109, v113, v114
	;; [unrolled: 1-line block ×3, first 2 shown]
	v_fma_f32 v113, v58, v8, -v122
	v_fmac_f32_e32 v123, v59, v8
	v_fma_f32 v52, v52, v10, -v124
	v_fmac_f32_e32 v125, v53, v10
	;; [unrolled: 2-line block ×4, first 2 shown]
	v_sub_f32_e32 v119, v101, v82
	v_fmamk_f32 v61, v107, 0xbf737871, v69
	v_fmac_f32_e32 v69, 0x3f737871, v107
	v_fma_f32 v62, -0.5, v111, v62
	v_fma_f32 v75, -0.5, v116, v63
	v_add_f32_e32 v111, v76, v121
	v_add_f32_e32 v58, v72, v73
	v_fmac_f32_e32 v65, 0xbf167918, v107
	v_fmac_f32_e32 v67, 0x3f167918, v107
	v_add_f32_e32 v0, v70, v71
	v_add_f32_e32 v1, v77, v82
	;; [unrolled: 1-line block ×7, first 2 shown]
	v_sub_f32_e32 v103, v103, v80
	v_fmamk_f32 v60, v78, 0x3f737871, v68
	v_fmac_f32_e32 v68, 0xbf737871, v78
	v_fmamk_f32 v64, v79, 0xbf737871, v66
	v_fmac_f32_e32 v66, 0x3f737871, v79
	v_add_f32_e32 v110, v118, v119
	v_fmac_f32_e32 v63, -0.5, v120
	v_add_f32_e32 v59, v100, v102
	v_fmac_f32_e32 v61, 0xbf167918, v108
	v_fmac_f32_e32 v69, 0x3f167918, v108
	v_sub_f32_e32 v73, v123, v129
	v_sub_f32_e32 v100, v125, v127
	;; [unrolled: 1-line block ×5, first 2 shown]
	v_add_f32_e32 v115, v57, v123
	v_sub_f32_e32 v113, v113, v54
	v_sub_f32_e32 v118, v52, v53
	v_add_f32_e32 v70, v0, v80
	v_add_f32_e32 v71, v1, v101
	;; [unrolled: 1-line block ×3, first 2 shown]
	v_fma_f32 v0, -0.5, v72, v56
	v_fmac_f32_e32 v56, -0.5, v107
	v_fma_f32 v1, -0.5, v116, v57
	v_fmac_f32_e32 v57, -0.5, v121
	v_fmac_f32_e32 v60, 0x3f167918, v79
	v_fmac_f32_e32 v68, 0xbf167918, v79
	;; [unrolled: 1-line block ×4, first 2 shown]
	v_fmamk_f32 v76, v105, 0x3f737871, v74
	v_fmac_f32_e32 v74, 0xbf737871, v105
	v_fmamk_f32 v78, v106, 0xbf737871, v62
	v_fmac_f32_e32 v62, 0x3f737871, v106
	;; [unrolled: 2-line block ×4, first 2 shown]
	v_sub_f32_e32 v114, v53, v54
	v_sub_f32_e32 v119, v123, v125
	;; [unrolled: 1-line block ×5, first 2 shown]
	v_fmac_f32_e32 v61, 0x3e9e377a, v83
	v_fmac_f32_e32 v69, 0x3e9e377a, v83
	v_fmac_f32_e32 v65, 0x3e9e377a, v81
	v_fmac_f32_e32 v67, 0x3e9e377a, v81
	v_add_f32_e32 v55, v82, v102
	v_add_f32_e32 v80, v115, v125
	;; [unrolled: 1-line block ×3, first 2 shown]
	v_fmamk_f32 v82, v73, 0x3f737871, v0
	v_fmac_f32_e32 v0, 0xbf737871, v73
	v_fmamk_f32 v52, v100, 0xbf737871, v56
	v_fmac_f32_e32 v56, 0x3f737871, v100
	;; [unrolled: 2-line block ×4, first 2 shown]
	v_fmac_f32_e32 v64, 0x3e9e377a, v99
	v_fmac_f32_e32 v66, 0x3e9e377a, v99
	;; [unrolled: 1-line block ×10, first 2 shown]
	v_add_f32_e32 v72, v108, v114
	v_add_f32_e32 v99, v119, v120
	;; [unrolled: 1-line block ×4, first 2 shown]
	v_fmac_f32_e32 v82, 0x3f167918, v100
	v_fmac_f32_e32 v0, 0xbf167918, v100
	v_fmac_f32_e32 v52, 0x3f167918, v73
	v_fmac_f32_e32 v56, 0xbf167918, v73
	v_fmac_f32_e32 v83, 0xbf167918, v118
	v_fmac_f32_e32 v1, 0x3f167918, v118
	v_fmac_f32_e32 v53, 0xbf167918, v113
	v_fmac_f32_e32 v57, 0x3f167918, v113
	v_fmac_f32_e32 v60, 0x3e9e377a, v112
	v_fmac_f32_e32 v68, 0x3e9e377a, v112
	v_fmac_f32_e32 v76, 0x3e9e377a, v104
	v_fmac_f32_e32 v74, 0x3e9e377a, v104
	v_fmac_f32_e32 v78, 0x3e9e377a, v109
	v_fmac_f32_e32 v62, 0x3e9e377a, v109
	v_fmac_f32_e32 v77, 0x3e9e377a, v110
	v_fmac_f32_e32 v75, 0x3e9e377a, v110
	v_fmac_f32_e32 v79, 0x3e9e377a, v111
	v_fmac_f32_e32 v63, 0x3e9e377a, v111
	v_add_f32_e32 v80, v81, v54
	v_add_f32_e32 v81, v102, v129
	v_fmac_f32_e32 v82, 0x3e9e377a, v55
	v_fmac_f32_e32 v0, 0x3e9e377a, v55
	;; [unrolled: 1-line block ×8, first 2 shown]
	ds_write2_b64 v95, v[60:61], v[64:65] offset0:29 offset1:250
	ds_write2_b64 v96, v[66:67], v[68:69] offset0:23 offset1:244
	ds_write2_b64 v92, v[58:59], v[70:71] offset1:85
	ds_write2_b64 v97, v[76:77], v[78:79] offset0:18 offset1:239
	ds_write2_b64 v98, v[62:63], v[74:75] offset0:12 offset1:233
	s_and_saveexec_b32 s1, s0
	s_cbranch_execz .LBB0_11
; %bb.10:
	v_add_nc_u32_e32 v54, 0x500, v92
	v_add_nc_u32_e32 v55, 0x1300, v92
	ds_write2_b64 v54, v[80:81], v[82:83] offset0:10 offset1:231
	ds_write2_b64 v55, v[52:53], v[56:57] offset0:4 offset1:225
	ds_write_b64 v92, v[0:1] offset:8432
.LBB0_11:
	s_or_b32 exec_lo, exec_lo, s1
	s_waitcnt lgkmcnt(0)
	s_barrier
	buffer_gl0_inv
	s_and_saveexec_b32 s2, vcc_lo
	s_cbranch_execz .LBB0_13
; %bb.12:
	v_add_co_u32 v99, s1, s12, v87
	v_add_co_ci_u32_e64 v100, null, s13, 0, s1
	v_add_nc_u32_e32 v161, 0x800, v92
	v_add_co_u32 v54, s1, 0x2288, v99
	v_add_co_ci_u32_e64 v55, s1, 0, v100, s1
	v_add_co_u32 v72, s1, 0x2000, v99
	v_add_co_ci_u32_e64 v73, s1, 0, v100, s1
	;; [unrolled: 2-line block ×4, first 2 shown]
	s_clause 0x7
	global_load_dwordx2 v[127:128], v[54:55], off offset:520
	global_load_dwordx2 v[129:130], v[54:55], off offset:1040
	;; [unrolled: 1-line block ×8, first 2 shown]
	v_add_co_u32 v95, s1, 0x3800, v99
	v_add_co_ci_u32_e64 v96, s1, 0, v100, s1
	s_clause 0x4
	global_load_dwordx2 v[139:140], v[97:98], off offset:712
	global_load_dwordx2 v[141:142], v[97:98], off offset:1232
	;; [unrolled: 1-line block ×5, first 2 shown]
	v_add_co_u32 v97, s1, 0x4000, v99
	v_add_co_ci_u32_e64 v98, s1, 0, v100, s1
	s_clause 0x3
	global_load_dwordx2 v[149:150], v[95:96], off offset:1264
	global_load_dwordx2 v[151:152], v[95:96], off offset:1784
	global_load_dwordx2 v[153:154], v[97:98], off offset:256
	global_load_dwordx2 v[155:156], v[97:98], off offset:776
	ds_read2_b64 v[95:98], v92 offset1:65
	v_add_nc_u32_e32 v162, 0x1000, v92
	ds_read2_b64 v[99:102], v92 offset0:130 offset1:195
	ds_read2_b64 v[103:106], v161 offset0:4 offset1:69
	;; [unrolled: 1-line block ×3, first 2 shown]
	v_add_nc_u32_e32 v163, 0x1800, v92
	ds_read_b64 v[157:158], v92 offset:8320
	ds_read2_b64 v[111:114], v162 offset0:8 offset1:73
	ds_read2_b64 v[115:118], v162 offset0:138 offset1:203
	;; [unrolled: 1-line block ×4, first 2 shown]
	s_waitcnt vmcnt(16) lgkmcnt(8)
	v_mul_f32_e32 v164, v98, v128
	s_waitcnt vmcnt(15) lgkmcnt(7)
	v_mul_f32_e32 v165, v100, v130
	s_waitcnt vmcnt(14)
	v_mul_f32_e32 v159, v96, v73
	v_mul_f32_e32 v160, v95, v73
	;; [unrolled: 1-line block ×4, first 2 shown]
	s_waitcnt vmcnt(13)
	v_mul_f32_e32 v166, v102, v55
	v_mul_f32_e32 v130, v101, v55
	s_waitcnt vmcnt(12) lgkmcnt(6)
	v_mul_f32_e32 v167, v104, v132
	v_mul_f32_e32 v55, v103, v132
	s_waitcnt vmcnt(11)
	v_mul_f32_e32 v168, v106, v134
	v_mul_f32_e32 v132, v105, v134
	s_waitcnt vmcnt(10) lgkmcnt(5)
	v_mul_f32_e32 v169, v108, v136
	v_mul_f32_e32 v134, v107, v136
	;; [unrolled: 6-line block ×6, first 2 shown]
	s_waitcnt vmcnt(1)
	v_mul_f32_e32 v178, v126, v154
	v_mul_f32_e32 v152, v125, v154
	s_waitcnt vmcnt(0)
	v_mul_f32_e32 v179, v158, v156
	v_mul_f32_e32 v154, v157, v156
	v_fma_f32 v159, v95, v72, -v159
	v_fmac_f32_e32 v160, v96, v72
	v_fma_f32 v72, v97, v127, -v164
	v_fmac_f32_e32 v73, v98, v127
	;; [unrolled: 2-line block ×17, first 2 shown]
	ds_write2_b64 v92, v[159:160], v[72:73] offset1:65
	ds_write2_b64 v92, v[127:128], v[129:130] offset0:130 offset1:195
	ds_write2_b64 v161, v[54:55], v[131:132] offset0:4 offset1:69
	;; [unrolled: 1-line block ×7, first 2 shown]
	ds_write_b64 v92, v[153:154] offset:8320
.LBB0_13:
	s_or_b32 exec_lo, exec_lo, s2
	s_waitcnt lgkmcnt(0)
	s_barrier
	buffer_gl0_inv
	s_and_saveexec_b32 s1, vcc_lo
	s_cbranch_execz .LBB0_15
; %bb.14:
	v_add_nc_u32_e32 v0, 0x1800, v92
	v_add_nc_u32_e32 v1, 0x1000, v92
	;; [unrolled: 1-line block ×3, first 2 shown]
	ds_read2_b64 v[52:55], v0 offset0:12 offset1:77
	ds_read2_b64 v[58:61], v92 offset1:65
	ds_read2_b64 v[72:75], v1 offset0:8 offset1:73
	ds_read2_b64 v[64:67], v92 offset0:130 offset1:195
	ds_read_b64 v[85:86], v92 offset:8320
	ds_read2_b64 v[68:71], v2 offset0:4 offset1:69
	ds_read2_b64 v[76:79], v2 offset0:134 offset1:199
	;; [unrolled: 1-line block ×4, first 2 shown]
	s_waitcnt lgkmcnt(8)
	v_mov_b32_e32 v56, v54
	v_mov_b32_e32 v57, v55
	s_waitcnt lgkmcnt(6)
	v_mov_b32_e32 v62, v72
	v_mov_b32_e32 v63, v73
.LBB0_15:
	s_or_b32 exec_lo, exec_lo, s1
	s_waitcnt lgkmcnt(4)
	v_sub_f32_e32 v152, v61, v86
	v_add_f32_e32 v154, v86, v61
	v_add_f32_e32 v151, v85, v60
	v_sub_f32_e32 v153, v60, v85
	s_waitcnt lgkmcnt(0)
	v_add_f32_e32 v110, v3, v65
	v_mul_f32_e32 v155, 0xbf65296c, v152
	v_mul_f32_e32 v156, 0x3ee437d1, v154
	v_sub_f32_e32 v109, v65, v3
	v_add_f32_e32 v95, v2, v64
	v_mul_f32_e32 v157, 0xbf7ee86f, v152
	v_fma_f32 v54, 0x3ee437d1, v151, -v155
	v_fmamk_f32 v55, v153, 0xbf65296c, v156
	v_mul_f32_e32 v158, 0x3dbcf732, v154
	v_mul_f32_e32 v116, 0xbf4c4adb, v109
	v_sub_f32_e32 v96, v64, v2
	v_mul_f32_e32 v119, 0xbf1a4643, v110
	v_add_f32_e32 v54, v58, v54
	v_add_f32_e32 v55, v59, v55
	v_fma_f32 v72, 0x3dbcf732, v151, -v157
	v_fmamk_f32 v73, v153, 0xbf7ee86f, v158
	v_fma_f32 v97, 0xbf1a4643, v95, -v116
	v_sub_f32_e32 v111, v67, v1
	v_fmamk_f32 v98, v96, 0xbf4c4adb, v119
	v_mul_f32_e32 v130, 0xbe3c28d5, v109
	v_mul_f32_e32 v131, 0xbf7ba420, v110
	v_add_f32_e32 v112, v1, v67
	v_add_f32_e32 v72, v58, v72
	;; [unrolled: 1-line block ×5, first 2 shown]
	v_mul_f32_e32 v120, 0x3e3c28d5, v111
	v_add_f32_e32 v55, v98, v55
	v_fma_f32 v99, 0xbf7ba420, v95, -v130
	v_fmamk_f32 v100, v96, 0xbe3c28d5, v131
	v_sub_f32_e32 v98, v66, v0
	v_mul_f32_e32 v123, 0xbf7ba420, v112
	v_sub_f32_e32 v113, v69, v57
	v_fma_f32 v101, 0xbf7ba420, v97, -v120
	v_add_f32_e32 v72, v99, v72
	v_add_f32_e32 v73, v100, v73
	v_fmamk_f32 v100, v98, 0x3e3c28d5, v123
	v_mul_f32_e32 v134, 0x3f763a35, v111
	v_mul_f32_e32 v135, 0xbe8c1d8e, v112
	v_add_f32_e32 v99, v56, v68
	v_mul_f32_e32 v124, 0x3f763a35, v113
	v_add_f32_e32 v114, v57, v69
	v_add_f32_e32 v54, v101, v54
	;; [unrolled: 1-line block ×3, first 2 shown]
	v_fma_f32 v101, 0xbe8c1d8e, v97, -v134
	v_fmamk_f32 v102, v98, 0x3f763a35, v135
	v_fma_f32 v103, 0xbe8c1d8e, v99, -v124
	v_sub_f32_e32 v100, v68, v56
	v_mul_f32_e32 v128, 0xbe8c1d8e, v114
	v_sub_f32_e32 v115, v71, v53
	v_mul_f32_e32 v137, 0x3eb8f4ab, v113
	v_mul_f32_e32 v139, 0x3f6eb680, v114
	v_add_f32_e32 v117, v53, v71
	v_add_f32_e32 v72, v101, v72
	;; [unrolled: 1-line block ×4, first 2 shown]
	v_fmamk_f32 v103, v100, 0x3f763a35, v128
	v_add_f32_e32 v101, v52, v70
	v_mul_f32_e32 v129, 0x3f2c7751, v115
	v_fma_f32 v104, 0x3f6eb680, v99, -v137
	v_fmamk_f32 v105, v100, 0x3eb8f4ab, v139
	v_sub_f32_e32 v102, v70, v52
	v_mul_f32_e32 v132, 0x3f3d2fb0, v117
	v_add_f32_e32 v121, v83, v77
	v_fma_f32 v106, 0x3f3d2fb0, v101, -v129
	v_add_f32_e32 v55, v103, v55
	v_add_f32_e32 v72, v104, v72
	;; [unrolled: 1-line block ×3, first 2 shown]
	v_fmamk_f32 v105, v102, 0x3f2c7751, v132
	v_sub_f32_e32 v118, v77, v83
	v_mul_f32_e32 v141, 0xbf65296c, v115
	v_mul_f32_e32 v144, 0x3ee437d1, v117
	v_sub_f32_e32 v104, v76, v82
	v_mul_f32_e32 v136, 0x3f6eb680, v121
	v_add_f32_e32 v54, v106, v54
	v_add_f32_e32 v103, v82, v76
	v_mul_f32_e32 v133, 0xbeb8f4ab, v118
	v_fma_f32 v106, 0x3ee437d1, v101, -v141
	v_fmamk_f32 v107, v102, 0xbf65296c, v144
	v_add_f32_e32 v55, v105, v55
	v_fmamk_f32 v105, v104, 0xbeb8f4ab, v136
	v_mul_f32_e32 v145, 0xbf06c442, v118
	v_sub_f32_e32 v122, v79, v81
	v_fma_f32 v108, 0x3f6eb680, v103, -v133
	v_add_f32_e32 v72, v106, v72
	v_add_f32_e32 v73, v107, v73
	;; [unrolled: 1-line block ×4, first 2 shown]
	v_fma_f32 v107, 0xbf59a7d5, v103, -v145
	v_add_f32_e32 v105, v80, v78
	v_mul_f32_e32 v138, 0xbf7ee86f, v122
	v_mul_f32_e32 v146, 0x3f4c4adb, v122
	v_add_f32_e32 v54, v108, v54
	v_mul_f32_e32 v147, 0xbf59a7d5, v121
	v_sub_f32_e32 v106, v78, v80
	v_mul_f32_e32 v140, 0x3dbcf732, v125
	v_fma_f32 v126, 0x3dbcf732, v105, -v138
	v_add_f32_e32 v72, v107, v72
	v_fma_f32 v127, 0xbf1a4643, v105, -v146
	v_fmamk_f32 v108, v104, 0xbf06c442, v147
	v_fmamk_f32 v107, v106, 0xbf7ee86f, v140
	v_add_f32_e32 v54, v126, v54
	v_mul_f32_e32 v148, 0xbf1a4643, v125
	v_add_f32_e32 v159, v127, v72
	v_sub_f32_e32 v126, v63, v75
	v_add_f32_e32 v127, v75, v63
	v_add_f32_e32 v73, v108, v73
	v_add_f32_e32 v55, v107, v55
	v_fmamk_f32 v72, v106, 0x3f4c4adb, v148
	v_add_f32_e32 v107, v74, v62
	v_sub_f32_e32 v108, v62, v74
	v_mul_f32_e32 v142, 0xbf06c442, v126
	v_mul_f32_e32 v143, 0xbf59a7d5, v127
	;; [unrolled: 1-line block ×4, first 2 shown]
	v_add_f32_e32 v160, v72, v73
	v_fma_f32 v72, 0xbf59a7d5, v107, -v142
	v_fmamk_f32 v73, v108, 0xbf06c442, v143
	v_fma_f32 v161, 0x3f3d2fb0, v107, -v149
	v_fmamk_f32 v162, v108, 0x3f2c7751, v150
	v_add_f32_e32 v72, v72, v54
	v_add_f32_e32 v73, v73, v55
	;; [unrolled: 1-line block ×4, first 2 shown]
	s_barrier
	buffer_gl0_inv
	s_and_saveexec_b32 s1, vcc_lo
	s_cbranch_execz .LBB0_17
; %bb.16:
	v_add_f32_e32 v60, v60, v58
	v_add_f32_e32 v61, v61, v59
	v_mul_f32_e32 v164, 0x3ee437d1, v121
	v_mul_f32_e32 v165, 0x3f2c7751, v113
	v_mul_f32_e32 v166, 0xbe8c1d8e, v125
	v_add_f32_e32 v60, v64, v60
	v_add_f32_e32 v61, v65, v61
	v_mul_f32_e32 v167, 0xbf4c4adb, v115
	v_mul_f32_e32 v168, 0x3f65296c, v118
	v_mul_f32_e32 v169, 0xbf763a35, v122
	;; [unrolled: 5-line block ×6, first 2 shown]
	v_add_f32_e32 v60, v78, v60
	v_add_f32_e32 v61, v79, v61
	v_fmamk_f32 v78, v151, 0xbf7ba420, v70
	v_fma_f32 v70, 0xbf7ba420, v151, -v70
	v_fmamk_f32 v79, v151, 0xbf59a7d5, v71
	v_add_f32_e32 v60, v62, v60
	v_add_f32_e32 v61, v63, v61
	v_fma_f32 v71, 0xbf59a7d5, v151, -v71
	v_add_f32_e32 v78, v58, v78
	v_mul_f32_e32 v62, 0x3f3d2fb0, v154
	v_add_f32_e32 v60, v74, v60
	v_add_f32_e32 v61, v75, v61
	v_mul_f32_e32 v75, 0xbf763a35, v152
	v_mul_f32_e32 v74, 0xbf4c4adb, v152
	v_mul_f32_e32 v63, 0x3f6eb680, v154
	v_add_f32_e32 v60, v80, v60
	v_add_f32_e32 v61, v81, v61
	v_fmamk_f32 v81, v151, 0xbe8c1d8e, v75
	v_fma_f32 v75, 0xbe8c1d8e, v151, -v75
	v_fmamk_f32 v80, v151, 0xbf1a4643, v74
	v_add_f32_e32 v60, v82, v60
	v_add_f32_e32 v61, v83, v61
	v_fmamk_f32 v82, v151, 0x3f3d2fb0, v76
	v_fma_f32 v76, 0x3f3d2fb0, v151, -v76
	v_add_f32_e32 v159, v58, v75
	v_add_f32_e32 v52, v52, v60
	;; [unrolled: 1-line block ×3, first 2 shown]
	v_mul_f32_e32 v75, 0x3f6eb680, v110
	v_fma_f32 v74, 0xbf1a4643, v151, -v74
	v_fmamk_f32 v83, v151, 0x3f6eb680, v77
	v_add_f32_e32 v52, v56, v52
	v_add_f32_e32 v53, v57, v53
	v_mul_f32_e32 v56, 0xbf7ba420, v154
	v_fma_f32 v77, 0x3f6eb680, v151, -v77
	v_add_f32_e32 v161, v58, v76
	v_add_f32_e32 v0, v0, v52
	v_add_f32_e32 v1, v1, v53
	v_fmamk_f32 v64, v153, 0x3e3c28d5, v56
	v_mul_f32_e32 v53, 0x3ee437d1, v151
	v_mul_f32_e32 v76, 0xbf59a7d5, v112
	v_add_f32_e32 v0, v2, v0
	v_mul_f32_e32 v2, 0xbf7ee86f, v153
	v_add_f32_e32 v1, v3, v1
	;; [unrolled: 2-line block ×3, first 2 shown]
	v_add_f32_e32 v163, v58, v77
	v_sub_f32_e32 v2, v158, v2
	v_mul_f32_e32 v77, 0x3f3d2fb0, v114
	v_add_f32_e32 v3, v3, v157
	v_add_f32_e32 v0, v85, v0
	v_mul_f32_e32 v85, 0x3eb8f4ab, v109
	v_add_f32_e32 v151, v59, v2
	v_fmamk_f32 v2, v96, 0xbeb8f4ab, v75
	v_add_f32_e32 v152, v58, v3
	v_fmamk_f32 v3, v98, 0x3f06c442, v76
	v_mul_f32_e32 v52, 0xbf65296c, v153
	v_mul_f32_e32 v57, 0xbf59a7d5, v154
	v_add_f32_e32 v2, v2, v64
	v_mul_f32_e32 v60, 0xbf1a4643, v154
	v_mul_f32_e32 v61, 0xbe8c1d8e, v154
	v_sub_f32_e32 v52, v156, v52
	v_fmac_f32_e32 v56, 0xbe3c28d5, v153
	v_add_f32_e32 v2, v3, v2
	v_fmamk_f32 v3, v100, 0xbf2c7751, v77
	v_fmamk_f32 v65, v153, 0x3f06c442, v57
	v_fmac_f32_e32 v57, 0xbf06c442, v153
	v_fmamk_f32 v66, v153, 0x3f4c4adb, v60
	v_fmac_f32_e32 v60, 0xbf4c4adb, v153
	v_add_f32_e32 v2, v3, v2
	v_fmamk_f32 v3, v95, 0x3f6eb680, v85
	v_fmamk_f32 v67, v153, 0x3f763a35, v61
	v_fmac_f32_e32 v61, 0xbf763a35, v153
	v_fmamk_f32 v68, v153, 0x3f2c7751, v62
	v_fmac_f32_e32 v62, 0xbf2c7751, v153
	v_add_f32_e32 v3, v3, v78
	v_mul_f32_e32 v78, 0xbf1a4643, v117
	v_fmamk_f32 v69, v153, 0x3eb8f4ab, v63
	v_fmac_f32_e32 v63, 0xbeb8f4ab, v153
	v_add_f32_e32 v153, v59, v52
	v_add_f32_e32 v1, v86, v1
	v_fmamk_f32 v52, v102, 0x3f4c4adb, v78
	v_mul_f32_e32 v86, 0xbf06c442, v111
	v_add_f32_e32 v53, v53, v155
	v_add_f32_e32 v65, v59, v65
	;; [unrolled: 1-line block ×4, first 2 shown]
	v_fmamk_f32 v52, v97, 0xbf59a7d5, v86
	v_add_f32_e32 v154, v58, v53
	v_fmamk_f32 v53, v98, 0x3f7ee86f, v173
	v_add_f32_e32 v155, v59, v56
	v_mul_f32_e32 v178, 0x3f4c4adb, v113
	v_add_f32_e32 v3, v52, v3
	v_fmamk_f32 v52, v104, 0xbf65296c, v164
	v_mul_f32_e32 v179, 0x3f3d2fb0, v125
	v_mul_f32_e32 v180, 0xbeb8f4ab, v115
	;; [unrolled: 1-line block ×4, first 2 shown]
	v_add_f32_e32 v2, v52, v2
	v_fmamk_f32 v52, v99, 0x3f3d2fb0, v165
	v_mul_f32_e32 v183, 0xbe8c1d8e, v127
	v_mul_f32_e32 v184, 0xbf763a35, v126
	;; [unrolled: 1-line block ×3, first 2 shown]
	v_add_f32_e32 v66, v59, v66
	v_add_f32_e32 v3, v52, v3
	v_fmamk_f32 v52, v106, 0x3f763a35, v166
	v_mul_f32_e32 v186, 0x3f6eb680, v112
	v_add_f32_e32 v156, v59, v57
	v_mul_f32_e32 v187, 0xbf59a7d5, v114
	v_mul_f32_e32 v188, 0x3f763a35, v109
	v_add_f32_e32 v2, v52, v2
	v_fmamk_f32 v52, v101, 0xbf1a4643, v167
	v_fmamk_f32 v57, v98, 0x3eb8f4ab, v186
	v_add_f32_e32 v80, v58, v80
	v_add_f32_e32 v81, v58, v81
	;; [unrolled: 1-line block ×4, first 2 shown]
	v_fmamk_f32 v52, v103, 0x3ee437d1, v168
	v_add_f32_e32 v83, v58, v83
	v_add_f32_e32 v70, v58, v70
	v_add_f32_e32 v71, v58, v71
	v_add_f32_e32 v74, v58, v74
	v_add_f32_e32 v3, v52, v3
	v_fmamk_f32 v52, v105, 0xbe8c1d8e, v169
	v_mul_f32_e32 v189, 0xbeb8f4ab, v111
	v_mul_f32_e32 v190, 0x3f3d2fb0, v121
	;; [unrolled: 1-line block ×4, first 2 shown]
	v_add_f32_e32 v52, v52, v3
	v_fmamk_f32 v3, v108, 0xbf7ee86f, v170
	v_mul_f32_e32 v193, 0x3f7ee86f, v115
	v_mul_f32_e32 v194, 0xbf2c7751, v118
	;; [unrolled: 1-line block ×4, first 2 shown]
	v_add_f32_e32 v3, v3, v2
	v_fmamk_f32 v2, v107, 0x3dbcf732, v171
	v_mul_f32_e32 v197, 0x3f65296c, v126
	v_mul_f32_e32 v198, 0xbf59a7d5, v110
	v_add_f32_e32 v67, v59, v67
	v_mul_f32_e32 v199, 0x3f3d2fb0, v112
	v_add_f32_e32 v2, v2, v52
	v_fmamk_f32 v52, v96, 0xbf65296c, v172
	v_add_f32_e32 v68, v59, v68
	v_add_f32_e32 v69, v59, v69
	;; [unrolled: 1-line block ×7, first 2 shown]
	v_fmamk_f32 v59, v98, 0xbf2c7751, v199
	v_mul_f32_e32 v200, 0x3ee437d1, v114
	v_add_f32_e32 v52, v53, v52
	v_fmamk_f32 v53, v100, 0xbf4c4adb, v174
	v_mul_f32_e32 v201, 0x3f06c442, v109
	v_mul_f32_e32 v202, 0x3f2c7751, v111
	;; [unrolled: 1-line block ×4, first 2 shown]
	v_add_f32_e32 v52, v53, v52
	v_fmamk_f32 v53, v95, 0x3ee437d1, v175
	v_mul_f32_e32 v205, 0x3f6eb680, v125
	v_mul_f32_e32 v206, 0xbe3c28d5, v115
	;; [unrolled: 1-line block ×4, first 2 shown]
	v_add_f32_e32 v53, v53, v79
	v_mul_f32_e32 v79, 0x3f6eb680, v117
	v_mul_f32_e32 v209, 0xbf1a4643, v127
	;; [unrolled: 1-line block ×5, first 2 shown]
	v_fmamk_f32 v56, v102, 0x3eb8f4ab, v79
	v_mul_f32_e32 v63, 0xbe8c1d8e, v97
	v_mul_f32_e32 v65, 0xbeb8f4ab, v104
	v_sub_f32_e32 v61, v135, v61
	v_add_f32_e32 v62, v62, v130
	v_add_f32_e32 v52, v56, v52
	v_fmamk_f32 v56, v97, 0x3dbcf732, v176
	v_add_f32_e32 v63, v63, v134
	v_sub_f32_e32 v65, v136, v65
	v_add_f32_e32 v62, v62, v152
	v_mul_f32_e32 v130, 0xbe3c28d5, v113
	v_add_f32_e32 v53, v56, v53
	v_fmamk_f32 v56, v104, 0x3e3c28d5, v177
	v_mul_f32_e32 v134, 0x3f6eb680, v127
	v_add_f32_e32 v62, v63, v62
	v_mul_f32_e32 v63, 0x3f6eb680, v99
	v_mul_f32_e32 v135, 0x3eb8f4ab, v126
	v_add_f32_e32 v52, v56, v52
	v_fmamk_f32 v56, v99, 0xbf1a4643, v178
	v_mul_f32_e32 v113, 0xbf7ee86f, v113
	v_add_f32_e32 v63, v63, v137
	v_mul_f32_e32 v126, 0xbe3c28d5, v126
	v_fmac_f32_e32 v75, 0x3eb8f4ab, v96
	v_add_f32_e32 v53, v56, v53
	v_fmamk_f32 v56, v106, 0xbf2c7751, v179
	v_add_f32_e32 v62, v63, v62
	v_mul_f32_e32 v63, 0x3ee437d1, v101
	v_fmac_f32_e32 v76, 0xbf06c442, v98
	v_fmac_f32_e32 v77, 0x3f2c7751, v100
	v_add_f32_e32 v52, v56, v52
	v_fmamk_f32 v56, v101, 0x3f6eb680, v180
	v_add_f32_e32 v63, v63, v141
	v_fmac_f32_e32 v78, 0xbf4c4adb, v102
	v_fmac_f32_e32 v164, 0x3f65296c, v104
	;; [unrolled: 1-line block ×3, first 2 shown]
	v_add_f32_e32 v53, v56, v53
	v_fmamk_f32 v56, v103, 0xbf7ba420, v181
	v_add_f32_e32 v62, v63, v62
	v_mul_f32_e32 v63, 0xbf59a7d5, v103
	v_fmac_f32_e32 v170, 0x3f7ee86f, v108
	v_fmac_f32_e32 v172, 0x3f65296c, v96
	v_add_f32_e32 v53, v56, v53
	v_fmamk_f32 v56, v105, 0x3f3d2fb0, v182
	v_add_f32_e32 v63, v63, v145
	v_fmac_f32_e32 v173, 0xbf7ee86f, v98
	v_fmac_f32_e32 v174, 0x3f4c4adb, v100
	;; [unrolled: 1-line block ×3, first 2 shown]
	v_add_f32_e32 v56, v56, v53
	v_fmamk_f32 v53, v108, 0x3f763a35, v183
	v_fmac_f32_e32 v177, 0xbe3c28d5, v104
	v_fmac_f32_e32 v179, 0x3f2c7751, v106
	;; [unrolled: 1-line block ×4, first 2 shown]
	v_add_f32_e32 v53, v53, v52
	v_fmamk_f32 v52, v107, 0xbe8c1d8e, v184
	v_fmac_f32_e32 v186, 0xbeb8f4ab, v98
	v_add_f32_e32 v52, v52, v56
	v_fmamk_f32 v56, v96, 0xbf763a35, v185
	v_fmac_f32_e32 v185, 0x3f763a35, v96
	v_add_f32_e32 v56, v56, v66
	v_add_f32_e32 v56, v57, v56
	v_fmamk_f32 v57, v100, 0x3f06c442, v187
	v_fmac_f32_e32 v187, 0xbf06c442, v100
	v_add_f32_e32 v56, v57, v56
	v_fmamk_f32 v57, v95, 0xbe8c1d8e, v188
	v_add_f32_e32 v57, v57, v80
	v_mul_f32_e32 v80, 0x3dbcf732, v117
	v_fmamk_f32 v58, v102, 0xbf7ee86f, v80
	v_fmac_f32_e32 v80, 0x3f7ee86f, v102
	v_add_f32_e32 v56, v58, v56
	v_fmamk_f32 v58, v97, 0x3f6eb680, v189
	v_add_f32_e32 v57, v58, v57
	v_fmamk_f32 v58, v104, 0x3f2c7751, v190
	v_fmac_f32_e32 v190, 0xbf2c7751, v104
	v_add_f32_e32 v56, v58, v56
	v_fmamk_f32 v58, v99, 0xbf59a7d5, v191
	v_add_f32_e32 v57, v58, v57
	;; [unrolled: 5-line block ×3, first 2 shown]
	v_fmamk_f32 v58, v103, 0x3f3d2fb0, v194
	v_add_f32_e32 v57, v58, v57
	v_fmamk_f32 v58, v105, 0xbf7ba420, v195
	v_add_f32_e32 v58, v58, v57
	v_fmamk_f32 v57, v108, 0xbf65296c, v196
	v_fmac_f32_e32 v196, 0x3f65296c, v108
	v_add_f32_e32 v57, v57, v56
	v_fmamk_f32 v56, v107, 0x3ee437d1, v197
	v_add_f32_e32 v56, v56, v58
	v_fmamk_f32 v58, v96, 0xbf06c442, v198
	v_fmac_f32_e32 v198, 0x3f06c442, v96
	v_add_f32_e32 v58, v58, v67
	v_add_f32_e32 v58, v59, v58
	v_fmamk_f32 v59, v100, 0x3f65296c, v200
	v_fmac_f32_e32 v200, 0xbf65296c, v100
	v_add_f32_e32 v58, v59, v58
	v_fmamk_f32 v59, v95, 0xbf59a7d5, v201
	v_add_f32_e32 v59, v59, v81
	v_mul_f32_e32 v81, 0xbf7ba420, v117
	v_fmamk_f32 v60, v102, 0x3e3c28d5, v81
	v_fmac_f32_e32 v81, 0xbe3c28d5, v102
	v_add_f32_e32 v58, v60, v58
	v_fmamk_f32 v60, v97, 0x3f3d2fb0, v202
	v_add_f32_e32 v59, v60, v59
	v_fmamk_f32 v60, v104, 0xbf7ee86f, v203
	v_fmac_f32_e32 v203, 0x3f7ee86f, v104
	v_add_f32_e32 v58, v60, v58
	v_fmamk_f32 v60, v99, 0x3ee437d1, v204
	v_add_f32_e32 v59, v60, v59
	;; [unrolled: 5-line block ×3, first 2 shown]
	v_fmamk_f32 v60, v103, 0x3dbcf732, v207
	v_add_f32_e32 v59, v60, v59
	v_fmamk_f32 v60, v105, 0x3f6eb680, v208
	v_add_f32_e32 v60, v60, v59
	v_fmamk_f32 v59, v108, 0x3f4c4adb, v209
	v_fmac_f32_e32 v209, 0xbf4c4adb, v108
	v_add_f32_e32 v59, v59, v58
	v_fmamk_f32 v58, v107, 0xbf1a4643, v210
	v_add_f32_e32 v58, v58, v60
	v_mul_f32_e32 v60, 0xbe3c28d5, v96
	v_sub_f32_e32 v60, v131, v60
	v_mul_f32_e32 v131, 0x3f06c442, v115
	v_mul_f32_e32 v115, 0xbf763a35, v115
	v_add_f32_e32 v60, v60, v151
	v_add_f32_e32 v60, v61, v60
	v_mul_f32_e32 v61, 0x3eb8f4ab, v100
	v_sub_f32_e32 v61, v139, v61
	v_add_f32_e32 v60, v61, v60
	v_mul_f32_e32 v61, 0xbf65296c, v102
	v_sub_f32_e32 v61, v144, v61
	;; [unrolled: 3-line block ×4, first 2 shown]
	v_add_f32_e32 v60, v61, v60
	v_add_f32_e32 v61, v63, v62
	v_mul_f32_e32 v62, 0xbf1a4643, v105
	v_mul_f32_e32 v63, 0x3f2c7751, v108
	v_add_f32_e32 v62, v62, v146
	v_sub_f32_e32 v63, v150, v63
	v_add_f32_e32 v62, v62, v61
	v_mul_f32_e32 v61, 0x3f3d2fb0, v107
	v_add_f32_e32 v64, v61, v149
	v_add_f32_e32 v61, v63, v60
	v_mul_f32_e32 v63, 0x3e3c28d5, v98
	v_add_f32_e32 v60, v64, v62
	v_mul_f32_e32 v62, 0xbf4c4adb, v96
	v_sub_f32_e32 v63, v123, v63
	v_mul_f32_e32 v64, 0xbf1a4643, v95
	v_mul_f32_e32 v123, 0xbf59a7d5, v117
	;; [unrolled: 1-line block ×3, first 2 shown]
	v_sub_f32_e32 v62, v119, v62
	v_mul_f32_e32 v119, 0xbf1a4643, v112
	v_add_f32_e32 v64, v64, v116
	v_mul_f32_e32 v116, 0x3dbcf732, v110
	v_mul_f32_e32 v110, 0x3f3d2fb0, v110
	v_add_f32_e32 v62, v62, v153
	v_mul_f32_e32 v112, 0x3ee437d1, v112
	v_add_f32_e32 v62, v63, v62
	v_mul_f32_e32 v63, 0x3f763a35, v100
	v_fmamk_f32 v67, v98, 0x3f65296c, v112
	v_fmac_f32_e32 v112, 0xbf65296c, v98
	v_sub_f32_e32 v63, v128, v63
	v_mul_f32_e32 v128, 0x3ee437d1, v125
	v_add_f32_e32 v62, v63, v62
	v_mul_f32_e32 v63, 0x3f2c7751, v102
	v_sub_f32_e32 v63, v132, v63
	v_mul_f32_e32 v132, 0x3f763a35, v118
	v_mul_f32_e32 v118, 0xbf4c4adb, v118
	v_add_f32_e32 v62, v63, v62
	v_add_f32_e32 v63, v64, v154
	v_mul_f32_e32 v64, 0xbf7ba420, v97
	v_add_f32_e32 v62, v65, v62
	v_mul_f32_e32 v65, 0xbf7ee86f, v106
	;; [unrolled: 2-line block ×3, first 2 shown]
	v_mul_f32_e32 v114, 0x3dbcf732, v114
	v_sub_f32_e32 v65, v140, v65
	v_add_f32_e32 v63, v64, v63
	v_mul_f32_e32 v64, 0xbe8c1d8e, v99
	v_add_f32_e32 v62, v65, v62
	v_mul_f32_e32 v65, 0xbf06c442, v108
	;; [unrolled: 2-line block ×3, first 2 shown]
	v_mul_f32_e32 v121, 0xbf1a4643, v121
	v_sub_f32_e32 v65, v143, v65
	v_add_f32_e32 v63, v64, v63
	v_mul_f32_e32 v64, 0x3f3d2fb0, v101
	v_add_f32_e32 v64, v64, v129
	v_mul_f32_e32 v129, 0xbf7ee86f, v109
	v_mul_f32_e32 v109, 0xbf2c7751, v109
	v_add_f32_e32 v63, v64, v63
	v_mul_f32_e32 v64, 0x3f6eb680, v103
	v_add_f32_e32 v64, v64, v133
	v_mul_f32_e32 v133, 0x3f65296c, v122
	v_mul_f32_e32 v122, 0xbf06c442, v122
	v_add_f32_e32 v63, v64, v63
	v_mul_f32_e32 v64, 0x3dbcf732, v105
	v_add_f32_e32 v64, v64, v138
	v_add_f32_e32 v64, v64, v63
	v_mul_f32_e32 v63, 0xbf59a7d5, v107
	v_add_f32_e32 v66, v63, v142
	v_add_f32_e32 v63, v65, v62
	v_fmamk_f32 v65, v98, 0x3f4c4adb, v119
	v_fmac_f32_e32 v119, 0xbf4c4adb, v98
	v_add_f32_e32 v62, v66, v64
	v_fmamk_f32 v64, v96, 0x3f7ee86f, v116
	v_fmac_f32_e32 v116, 0xbf7ee86f, v96
	v_add_f32_e32 v64, v64, v68
	v_add_f32_e32 v64, v65, v64
	v_fmamk_f32 v65, v100, 0x3e3c28d5, v120
	v_fmac_f32_e32 v120, 0xbe3c28d5, v100
	v_add_f32_e32 v64, v65, v64
	v_fmamk_f32 v65, v102, 0xbf06c442, v123
	v_fmac_f32_e32 v123, 0x3f06c442, v102
	;; [unrolled: 3-line block ×4, first 2 shown]
	v_add_f32_e32 v64, v65, v64
	v_fmamk_f32 v65, v95, 0x3dbcf732, v129
	v_add_f32_e32 v65, v65, v82
	v_mul_f32_e32 v82, 0xbf4c4adb, v111
	v_mul_f32_e32 v111, 0xbf65296c, v111
	v_fmamk_f32 v66, v97, 0xbf1a4643, v82
	v_add_f32_e32 v65, v66, v65
	v_fmamk_f32 v66, v99, 0xbf7ba420, v130
	v_add_f32_e32 v65, v66, v65
	;; [unrolled: 2-line block ×5, first 2 shown]
	v_fmamk_f32 v65, v108, 0xbeb8f4ab, v134
	v_fmac_f32_e32 v134, 0x3eb8f4ab, v108
	v_add_f32_e32 v65, v65, v64
	v_fmamk_f32 v64, v107, 0x3f6eb680, v135
	v_add_f32_e32 v64, v64, v66
	v_fmamk_f32 v66, v96, 0x3f2c7751, v110
	v_fmac_f32_e32 v110, 0xbf2c7751, v96
	v_add_f32_e32 v66, v66, v69
	v_fma_f32 v69, 0x3f6eb680, v95, -v85
	v_fma_f32 v85, 0xbf59a7d5, v101, -v131
	v_add_f32_e32 v66, v67, v66
	v_fmamk_f32 v67, v100, 0x3f7ee86f, v114
	v_add_f32_e32 v69, v69, v70
	v_fma_f32 v70, 0xbf59a7d5, v97, -v86
	v_fmac_f32_e32 v114, 0xbf7ee86f, v100
	v_fma_f32 v86, 0x3f6eb680, v107, -v135
	v_add_f32_e32 v66, v67, v66
	v_fmamk_f32 v67, v102, 0x3f763a35, v117
	v_add_f32_e32 v69, v70, v69
	v_fma_f32 v70, 0x3f3d2fb0, v99, -v165
	v_fmac_f32_e32 v117, 0xbf763a35, v102
	v_add_f32_e32 v66, v67, v66
	v_fmamk_f32 v67, v104, 0x3f4c4adb, v121
	v_add_f32_e32 v69, v70, v69
	v_fma_f32 v70, 0xbf1a4643, v101, -v167
	v_fmac_f32_e32 v121, 0xbf4c4adb, v104
	v_add_f32_e32 v66, v67, v66
	v_fmamk_f32 v67, v95, 0x3f3d2fb0, v109
	v_add_f32_e32 v69, v70, v69
	v_fma_f32 v70, 0x3ee437d1, v103, -v168
	v_add_f32_e32 v67, v67, v83
	v_mul_f32_e32 v83, 0xbf59a7d5, v125
	v_mul_f32_e32 v125, 0xbf7ba420, v127
	v_add_f32_e32 v69, v70, v69
	v_fma_f32 v70, 0xbe8c1d8e, v105, -v169
	v_fmamk_f32 v68, v106, 0x3f06c442, v83
	v_fmac_f32_e32 v83, 0xbf06c442, v106
	v_add_f32_e32 v70, v70, v69
	v_add_f32_e32 v66, v68, v66
	v_fmamk_f32 v68, v97, 0x3ee437d1, v111
	v_add_f32_e32 v67, v68, v67
	v_fmamk_f32 v68, v99, 0x3dbcf732, v113
	;; [unrolled: 2-line block ×6, first 2 shown]
	v_fmac_f32_e32 v125, 0xbe3c28d5, v108
	v_add_f32_e32 v67, v67, v66
	v_fmamk_f32 v66, v107, 0xbf7ba420, v126
	v_add_f32_e32 v66, v66, v68
	v_add_f32_e32 v68, v75, v155
	v_fma_f32 v75, 0x3dbcf732, v107, -v171
	v_add_f32_e32 v68, v76, v68
	v_fma_f32 v76, 0xbe8c1d8e, v107, -v184
	;; [unrolled: 2-line block ×3, first 2 shown]
	v_add_f32_e32 v68, v78, v68
	v_add_f32_e32 v77, v77, v159
	v_fma_f32 v78, 0x3f3d2fb0, v97, -v202
	v_add_f32_e32 v68, v164, v68
	v_add_f32_e32 v77, v78, v77
	v_fma_f32 v78, 0x3ee437d1, v99, -v204
	;; [unrolled: 3-line block ×5, first 2 shown]
	v_add_f32_e32 v71, v75, v71
	v_fma_f32 v75, 0x3dbcf732, v97, -v176
	v_add_f32_e32 v70, v173, v70
	v_add_f32_e32 v77, v78, v77
	v_fma_f32 v78, 0x3f6eb680, v105, -v208
	v_add_f32_e32 v71, v75, v71
	v_fma_f32 v75, 0xbf1a4643, v99, -v178
	v_add_f32_e32 v70, v174, v70
	v_add_f32_e32 v78, v78, v77
	;; [unrolled: 1-line block ×3, first 2 shown]
	v_fma_f32 v75, 0x3f6eb680, v101, -v180
	v_add_f32_e32 v70, v79, v70
	v_fma_f32 v79, 0xbf1a4643, v107, -v210
	v_add_f32_e32 v71, v75, v71
	;; [unrolled: 2-line block ×3, first 2 shown]
	v_add_f32_e32 v71, v75, v71
	v_fma_f32 v75, 0x3f3d2fb0, v105, -v182
	v_add_f32_e32 v70, v179, v70
	v_add_f32_e32 v75, v75, v71
	;; [unrolled: 1-line block ×4, first 2 shown]
	v_fma_f32 v76, 0xbe8c1d8e, v95, -v188
	v_add_f32_e32 v75, v185, v157
	v_add_f32_e32 v74, v76, v74
	v_fma_f32 v76, 0x3f6eb680, v97, -v189
	v_add_f32_e32 v75, v186, v75
	v_add_f32_e32 v74, v76, v74
	v_fma_f32 v76, 0xbf59a7d5, v99, -v191
	v_add_f32_e32 v75, v187, v75
	v_add_f32_e32 v74, v76, v74
	v_fma_f32 v76, 0x3dbcf732, v101, -v193
	v_add_f32_e32 v75, v80, v75
	v_fma_f32 v80, 0xbf1a4643, v97, -v82
	v_fma_f32 v82, 0xbf7ba420, v99, -v130
	v_add_f32_e32 v74, v76, v74
	v_fma_f32 v76, 0x3f3d2fb0, v103, -v194
	v_add_f32_e32 v75, v190, v75
	v_add_f32_e32 v74, v76, v74
	v_fma_f32 v76, 0xbf7ba420, v105, -v195
	v_add_f32_e32 v75, v192, v75
	v_add_f32_e32 v74, v76, v74
	v_fma_f32 v76, 0x3ee437d1, v107, -v197
	v_add_f32_e32 v75, v196, v75
	v_add_f32_e32 v74, v76, v74
	v_add_f32_e32 v76, v198, v158
	;; [unrolled: 1-line block ×12, first 2 shown]
	v_fma_f32 v79, 0x3dbcf732, v95, -v129
	v_add_f32_e32 v78, v116, v160
	v_add_f32_e32 v81, v117, v81
	;; [unrolled: 1-line block ×5, first 2 shown]
	v_fma_f32 v80, 0x3f3d2fb0, v95, -v109
	v_add_f32_e32 v78, v120, v78
	v_add_f32_e32 v79, v82, v79
	;; [unrolled: 1-line block ×3, first 2 shown]
	v_fma_f32 v82, 0x3ee437d1, v97, -v111
	v_add_f32_e32 v78, v123, v78
	v_add_f32_e32 v79, v85, v79
	v_fma_f32 v85, 0xbe8c1d8e, v103, -v132
	v_add_f32_e32 v80, v82, v80
	v_fma_f32 v82, 0x3dbcf732, v99, -v113
	v_add_f32_e32 v78, v124, v78
	v_add_f32_e32 v79, v85, v79
	v_fma_f32 v85, 0x3ee437d1, v105, -v133
	v_add_f32_e32 v80, v82, v80
	v_fma_f32 v82, 0xbe8c1d8e, v101, -v115
	v_add_f32_e32 v78, v128, v78
	v_add_f32_e32 v85, v85, v79
	;; [unrolled: 1-line block ×4, first 2 shown]
	v_fma_f32 v82, 0xbf1a4643, v103, -v118
	v_mul_lo_u16 v81, v88, 17
	v_add_f32_e32 v83, v83, v79
	v_add_f32_e32 v79, v134, v78
	;; [unrolled: 1-line block ×3, first 2 shown]
	v_fma_f32 v82, 0xbf59a7d5, v105, -v122
	v_and_b32_e32 v81, 0xffff, v81
	v_add_f32_e32 v78, v86, v85
	v_add_f32_e32 v80, v82, v80
	v_fma_f32 v82, 0xbf7ba420, v107, -v126
	v_lshl_add_u32 v90, v81, 3, v90
	v_add_f32_e32 v81, v125, v83
	v_add_f32_e32 v80, v82, v80
	ds_write2_b64 v90, v[0:1], v[66:67] offset1:1
	ds_write2_b64 v90, v[64:65], v[62:63] offset0:2 offset1:3
	ds_write2_b64 v90, v[60:61], v[58:59] offset0:4 offset1:5
	;; [unrolled: 1-line block ×7, first 2 shown]
	ds_write_b64 v90, v[80:81] offset:128
.LBB0_17:
	s_or_b32 exec_lo, exec_lo, s1
	s_waitcnt lgkmcnt(0)
	s_barrier
	buffer_gl0_inv
	ds_read2_b64 v[59:62], v91 offset1:85
	ds_read2_b64 v[0:3], v91 offset0:170 offset1:255
	v_add_nc_u32_e32 v52, 0x800, v91
	v_add_nc_u32_e32 v56, 0xc00, v91
	v_add_nc_u32_e32 v57, 0x1000, v91
	v_add_nc_u32_e32 v58, 0x1800, v91
	ds_read2_b64 v[63:66], v52 offset0:84 offset1:169
	ds_read_b64 v[52:53], v91 offset:8160
	ds_read2_b64 v[67:70], v56 offset0:126 offset1:211
	ds_read2_b64 v[74:77], v57 offset0:168 offset1:253
	;; [unrolled: 1-line block ×3, first 2 shown]
	s_waitcnt lgkmcnt(0)
	s_barrier
	buffer_gl0_inv
	v_mul_f32_e32 v71, v33, v62
	v_mul_f32_e32 v33, v33, v61
	;; [unrolled: 1-line block ×6, first 2 shown]
	v_fmac_f32_e32 v71, v32, v61
	v_fma_f32 v32, v32, v62, -v33
	v_fmac_f32_e32 v82, v34, v0
	v_mul_f32_e32 v0, v31, v63
	v_fma_f32 v33, v34, v1, -v35
	v_fmac_f32_e32 v83, v28, v2
	v_mul_f32_e32 v29, v21, v66
	v_fma_f32 v28, v28, v3, -v85
	v_mul_f32_e32 v1, v21, v65
	v_fma_f32 v21, v30, v64, -v0
	v_mul_f32_e32 v0, v23, v68
	v_mul_f32_e32 v2, v23, v67
	v_add_f32_e32 v3, v59, v71
	v_add_f32_e32 v23, v60, v32
	v_mul_f32_e32 v34, v31, v64
	v_fmac_f32_e32 v0, v22, v67
	v_fma_f32 v2, v22, v68, -v2
	v_add_f32_e32 v3, v3, v82
	v_add_f32_e32 v22, v23, v33
	v_fmac_f32_e32 v34, v30, v63
	v_fmac_f32_e32 v29, v20, v65
	v_fma_f32 v20, v20, v66, -v1
	v_mul_f32_e32 v1, v13, v70
	v_mul_f32_e32 v13, v13, v69
	v_add_f32_e32 v30, v3, v83
	v_add_f32_e32 v22, v22, v28
	v_mul_f32_e32 v23, v15, v75
	v_fmac_f32_e32 v1, v12, v69
	v_fma_f32 v3, v12, v70, -v13
	v_mul_f32_e32 v12, v15, v74
	v_add_f32_e32 v13, v30, v34
	v_add_f32_e32 v15, v22, v21
	v_fmac_f32_e32 v23, v14, v74
	v_mul_f32_e32 v22, v25, v77
	v_fma_f32 v14, v14, v75, -v12
	v_mul_f32_e32 v12, v25, v76
	v_add_f32_e32 v13, v13, v29
	v_add_f32_e32 v15, v15, v20
	v_fmac_f32_e32 v22, v24, v76
	v_mul_f32_e32 v25, v27, v79
	v_fma_f32 v24, v24, v77, -v12
	v_add_f32_e32 v12, v13, v0
	v_add_f32_e32 v13, v15, v2
	v_mul_f32_e32 v15, v27, v78
	v_fmac_f32_e32 v25, v26, v78
	v_mul_f32_e32 v27, v17, v81
	v_add_f32_e32 v12, v12, v1
	v_add_f32_e32 v13, v13, v3
	v_fma_f32 v15, v26, v79, -v15
	v_mul_f32_e32 v26, v19, v52
	v_mul_f32_e32 v19, v19, v53
	v_add_f32_e32 v12, v12, v23
	v_add_f32_e32 v13, v13, v14
	v_mul_f32_e32 v17, v17, v80
	v_fma_f32 v26, v18, v53, -v26
	v_fmac_f32_e32 v19, v18, v52
	v_add_f32_e32 v12, v12, v22
	v_fmac_f32_e32 v27, v16, v80
	v_add_f32_e32 v13, v13, v24
	v_sub_f32_e32 v18, v32, v26
	v_fma_f32 v16, v16, v81, -v17
	v_add_f32_e32 v12, v12, v25
	v_add_f32_e32 v17, v71, v19
	;; [unrolled: 1-line block ×3, first 2 shown]
	v_mul_f32_e32 v30, 0xbeedf032, v18
	v_add_f32_e32 v31, v32, v26
	v_add_f32_e32 v12, v12, v27
	v_sub_f32_e32 v78, v33, v16
	v_add_f32_e32 v13, v13, v16
	v_fmamk_f32 v35, v17, 0x3f62ad3f, v30
	v_sub_f32_e32 v32, v71, v19
	v_mul_f32_e32 v52, 0x3f62ad3f, v31
	v_add_f32_e32 v12, v12, v19
	v_mul_f32_e32 v53, 0x3f116cb1, v31
	v_add_f32_e32 v19, v59, v35
	v_mul_f32_e32 v35, 0xbf52af12, v18
	v_mul_f32_e32 v63, 0xbf7e222b, v18
	;; [unrolled: 1-line block ×9, first 2 shown]
	v_add_f32_e32 v80, v82, v27
	v_mul_f32_e32 v81, 0xbf52af12, v78
	v_add_f32_e32 v16, v33, v16
	v_add_f32_e32 v13, v13, v26
	v_fmamk_f32 v26, v32, 0x3eedf032, v52
	v_fma_f32 v30, 0x3f62ad3f, v17, -v30
	v_fmac_f32_e32 v52, 0xbeedf032, v32
	v_fmamk_f32 v61, v17, 0x3f116cb1, v35
	v_fmamk_f32 v62, v32, 0x3f52af12, v53
	v_fma_f32 v35, 0x3f116cb1, v17, -v35
	v_fmac_f32_e32 v53, 0xbf52af12, v32
	v_fmamk_f32 v64, v17, 0x3df6dbef, v63
	;; [unrolled: 4-line block ×5, first 2 shown]
	v_fmamk_f32 v79, v32, 0x3e750f2a, v31
	v_fma_f32 v17, 0xbf788fa5, v17, -v18
	v_fmac_f32_e32 v31, 0xbe750f2a, v32
	v_sub_f32_e32 v18, v82, v27
	v_fmamk_f32 v27, v80, 0x3f116cb1, v81
	v_mul_f32_e32 v32, 0x3f116cb1, v16
	v_add_f32_e32 v26, v60, v26
	v_add_f32_e32 v30, v59, v30
	;; [unrolled: 1-line block ×24, first 2 shown]
	v_fmamk_f32 v27, v18, 0x3f52af12, v32
	v_mul_f32_e32 v59, 0xbf6f5d39, v78
	v_fma_f32 v60, 0x3f116cb1, v80, -v81
	v_fmac_f32_e32 v32, 0xbf52af12, v18
	v_mul_f32_e32 v79, 0xbeb58ec6, v16
	v_add_f32_e32 v26, v27, v26
	v_fmamk_f32 v27, v80, 0xbeb58ec6, v59
	v_add_f32_e32 v30, v60, v30
	v_add_f32_e32 v32, v32, v52
	v_fmamk_f32 v52, v18, 0x3f6f5d39, v79
	v_mul_f32_e32 v60, 0xbe750f2a, v78
	v_add_f32_e32 v27, v27, v61
	v_fma_f32 v59, 0xbeb58ec6, v80, -v59
	v_fmac_f32_e32 v79, 0xbf6f5d39, v18
	v_add_f32_e32 v52, v52, v62
	v_fmamk_f32 v61, v80, 0xbf788fa5, v60
	v_mul_f32_e32 v62, 0xbf788fa5, v16
	v_add_f32_e32 v35, v59, v35
	v_mul_f32_e32 v59, 0x3f29c268, v78
	v_mul_f32_e32 v81, 0xbf3f9e67, v16
	v_add_f32_e32 v61, v61, v64
	v_fmamk_f32 v64, v18, 0x3e750f2a, v62
	v_fmac_f32_e32 v62, 0xbe750f2a, v18
	v_add_f32_e32 v53, v79, v53
	v_fma_f32 v60, 0xbf788fa5, v80, -v60
	v_fmamk_f32 v79, v80, 0xbf3f9e67, v59
	v_add_f32_e32 v64, v64, v67
	v_add_f32_e32 v62, v62, v65
	v_fmamk_f32 v65, v18, 0xbf29c268, v81
	v_mul_f32_e32 v67, 0x3f7e222b, v78
	v_add_f32_e32 v60, v60, v63
	v_add_f32_e32 v63, v79, v68
	v_fma_f32 v59, 0xbf3f9e67, v80, -v59
	v_mul_f32_e32 v68, 0x3df6dbef, v16
	v_add_f32_e32 v65, v65, v70
	v_fmamk_f32 v70, v80, 0x3df6dbef, v67
	v_mul_f32_e32 v78, 0x3eedf032, v78
	v_fma_f32 v67, 0x3df6dbef, v80, -v67
	v_add_f32_e32 v59, v59, v66
	v_fmamk_f32 v66, v18, 0xbf7e222b, v68
	v_add_f32_e32 v70, v70, v75
	v_fmac_f32_e32 v68, 0x3f7e222b, v18
	v_fmamk_f32 v75, v80, 0x3f62ad3f, v78
	v_add_f32_e32 v67, v67, v71
	v_sub_f32_e32 v71, v28, v15
	v_add_f32_e32 v66, v66, v76
	v_mul_f32_e32 v16, 0x3f62ad3f, v16
	v_add_f32_e32 v68, v68, v74
	v_add_f32_e32 v74, v75, v77
	;; [unrolled: 1-line block ×3, first 2 shown]
	v_mul_f32_e32 v77, 0xbf7e222b, v71
	v_add_f32_e32 v15, v28, v15
	v_fmac_f32_e32 v81, 0x3f29c268, v18
	v_fmamk_f32 v75, v18, 0xbeedf032, v16
	v_fma_f32 v28, 0x3f62ad3f, v80, -v78
	v_fmac_f32_e32 v16, 0x3eedf032, v18
	v_sub_f32_e32 v18, v83, v25
	v_fmamk_f32 v25, v76, 0x3df6dbef, v77
	v_mul_f32_e32 v78, 0x3df6dbef, v15
	v_add_f32_e32 v17, v28, v17
	v_mul_f32_e32 v28, 0xbe750f2a, v71
	v_add_f32_e32 v33, v75, v33
	v_add_f32_e32 v19, v25, v19
	v_fmamk_f32 v25, v18, 0x3f7e222b, v78
	v_add_f32_e32 v16, v16, v31
	v_fma_f32 v31, 0x3df6dbef, v76, -v77
	v_fmac_f32_e32 v78, 0xbf7e222b, v18
	v_mul_f32_e32 v75, 0xbf788fa5, v15
	v_add_f32_e32 v25, v25, v26
	v_fmamk_f32 v26, v76, 0xbf788fa5, v28
	v_add_f32_e32 v30, v31, v30
	v_add_f32_e32 v31, v78, v32
	v_fmamk_f32 v32, v18, 0x3e750f2a, v75
	v_mul_f32_e32 v77, 0x3f6f5d39, v71
	v_add_f32_e32 v26, v26, v27
	v_fma_f32 v27, 0xbf788fa5, v76, -v28
	v_fmac_f32_e32 v75, 0xbe750f2a, v18
	v_add_f32_e32 v28, v32, v52
	v_fmamk_f32 v32, v76, 0xbeb58ec6, v77
	v_mul_f32_e32 v52, 0xbeb58ec6, v15
	v_add_f32_e32 v27, v27, v35
	v_add_f32_e32 v35, v75, v53
	v_mul_f32_e32 v53, 0x3eedf032, v71
	v_add_f32_e32 v32, v32, v61
	v_fmamk_f32 v61, v18, 0xbf6f5d39, v52
	v_fma_f32 v75, 0xbeb58ec6, v76, -v77
	v_fmac_f32_e32 v52, 0x3f6f5d39, v18
	v_fmamk_f32 v77, v76, 0x3f62ad3f, v53
	v_mul_f32_e32 v78, 0x3f62ad3f, v15
	v_add_f32_e32 v61, v61, v64
	v_add_f32_e32 v60, v75, v60
	v_add_f32_e32 v52, v52, v62
	v_add_f32_e32 v62, v77, v63
	v_fmamk_f32 v63, v18, 0xbeedf032, v78
	v_mul_f32_e32 v64, 0xbf52af12, v71
	v_fma_f32 v53, 0x3f62ad3f, v76, -v53
	v_mul_f32_e32 v75, 0x3f116cb1, v15
	v_mul_f32_e32 v71, 0xbf29c268, v71
	v_add_f32_e32 v63, v63, v65
	v_fmamk_f32 v65, v76, 0x3f116cb1, v64
	v_add_f32_e32 v53, v53, v59
	v_fmamk_f32 v59, v18, 0x3f52af12, v75
	v_fma_f32 v64, 0x3f116cb1, v76, -v64
	v_fmac_f32_e32 v75, 0xbf52af12, v18
	v_mul_f32_e32 v15, 0xbf3f9e67, v15
	v_fmac_f32_e32 v78, 0x3eedf032, v18
	v_add_f32_e32 v59, v59, v66
	v_fmamk_f32 v66, v76, 0xbf3f9e67, v71
	v_add_f32_e32 v64, v64, v67
	v_sub_f32_e32 v67, v21, v24
	v_add_f32_e32 v68, v75, v68
	v_add_f32_e32 v21, v21, v24
	;; [unrolled: 1-line block ×4, first 2 shown]
	v_mul_f32_e32 v75, 0xbf6f5d39, v67
	v_add_f32_e32 v65, v65, v70
	v_fmamk_f32 v70, v18, 0x3f29c268, v15
	v_fma_f32 v24, 0xbf3f9e67, v76, -v71
	v_fmac_f32_e32 v15, 0xbf29c268, v18
	v_sub_f32_e32 v18, v34, v22
	v_fmamk_f32 v22, v74, 0xbeb58ec6, v75
	v_mul_f32_e32 v34, 0xbeb58ec6, v21
	v_add_f32_e32 v33, v70, v33
	v_add_f32_e32 v17, v24, v17
	;; [unrolled: 1-line block ×4, first 2 shown]
	v_fmamk_f32 v19, v18, 0x3f6f5d39, v34
	v_mul_f32_e32 v22, 0x3f29c268, v67
	v_fma_f32 v24, 0xbeb58ec6, v74, -v75
	v_fmac_f32_e32 v34, 0xbf6f5d39, v18
	v_mul_f32_e32 v70, 0xbf3f9e67, v21
	v_add_f32_e32 v19, v19, v25
	v_fmamk_f32 v25, v74, 0xbf3f9e67, v22
	v_add_f32_e32 v24, v24, v30
	v_add_f32_e32 v30, v34, v31
	v_fmamk_f32 v31, v18, 0xbf29c268, v70
	v_mul_f32_e32 v34, 0x3eedf032, v67
	v_fma_f32 v22, 0xbf3f9e67, v74, -v22
	v_fmac_f32_e32 v70, 0x3f29c268, v18
	v_add_f32_e32 v25, v25, v26
	v_add_f32_e32 v26, v31, v28
	v_fmamk_f32 v28, v74, 0x3f62ad3f, v34
	v_mul_f32_e32 v31, 0x3f62ad3f, v21
	v_add_f32_e32 v22, v22, v27
	v_add_f32_e32 v27, v70, v35
	v_mul_f32_e32 v35, 0xbf7e222b, v67
	v_add_f32_e32 v28, v28, v32
	v_fmamk_f32 v32, v18, 0xbeedf032, v31
	v_fma_f32 v34, 0x3f62ad3f, v74, -v34
	v_fmac_f32_e32 v31, 0x3eedf032, v18
	v_fmamk_f32 v70, v74, 0x3df6dbef, v35
	v_mul_f32_e32 v71, 0x3df6dbef, v21
	v_add_f32_e32 v32, v32, v61
	v_add_f32_e32 v34, v34, v60
	;; [unrolled: 1-line block ×4, first 2 shown]
	v_fmamk_f32 v60, v18, 0x3f7e222b, v71
	v_mul_f32_e32 v61, 0x3e750f2a, v67
	v_fma_f32 v35, 0x3df6dbef, v74, -v35
	v_mul_f32_e32 v62, 0xbf788fa5, v21
	v_mul_f32_e32 v67, 0x3f52af12, v67
	v_add_f32_e32 v60, v60, v63
	v_fmamk_f32 v63, v74, 0xbf788fa5, v61
	v_add_f32_e32 v35, v35, v53
	v_fmamk_f32 v53, v18, 0xbe750f2a, v62
	v_fma_f32 v61, 0xbf788fa5, v74, -v61
	v_fmac_f32_e32 v62, 0x3e750f2a, v18
	v_mul_f32_e32 v21, 0x3f116cb1, v21
	v_fmac_f32_e32 v71, 0xbf7e222b, v18
	v_add_f32_e32 v53, v53, v59
	v_fmamk_f32 v59, v74, 0x3f116cb1, v67
	v_add_f32_e32 v61, v61, v64
	v_sub_f32_e32 v64, v20, v14
	v_add_f32_e32 v62, v62, v68
	v_add_f32_e32 v14, v20, v14
	v_add_f32_e32 v59, v59, v66
	v_add_f32_e32 v66, v29, v23
	v_mul_f32_e32 v68, 0xbf29c268, v64
	v_add_f32_e32 v63, v63, v65
	v_fmamk_f32 v65, v18, 0xbf52af12, v21
	v_fma_f32 v20, 0x3f116cb1, v74, -v67
	v_fmac_f32_e32 v21, 0x3f52af12, v18
	v_sub_f32_e32 v18, v29, v23
	v_fmamk_f32 v23, v66, 0xbf3f9e67, v68
	v_mul_f32_e32 v29, 0xbf3f9e67, v14
	v_add_f32_e32 v33, v65, v33
	v_add_f32_e32 v17, v20, v17
	;; [unrolled: 1-line block ×4, first 2 shown]
	v_fmamk_f32 v20, v18, 0x3f29c268, v29
	v_mul_f32_e32 v21, 0x3f7e222b, v64
	v_fma_f32 v23, 0xbf3f9e67, v66, -v68
	v_fmac_f32_e32 v29, 0xbf29c268, v18
	v_mul_f32_e32 v65, 0x3df6dbef, v14
	v_add_f32_e32 v19, v20, v19
	v_fmamk_f32 v20, v66, 0x3df6dbef, v21
	v_add_f32_e32 v23, v23, v24
	v_add_f32_e32 v24, v29, v30
	v_fmamk_f32 v29, v18, 0xbf7e222b, v65
	v_mul_f32_e32 v30, 0xbf52af12, v64
	v_fma_f32 v21, 0x3df6dbef, v66, -v21
	v_fmac_f32_e32 v65, 0x3f7e222b, v18
	v_add_f32_e32 v20, v20, v25
	v_add_f32_e32 v25, v29, v26
	v_fmamk_f32 v26, v66, 0x3f116cb1, v30
	v_mul_f32_e32 v29, 0x3f116cb1, v14
	v_add_f32_e32 v21, v21, v22
	v_add_f32_e32 v22, v65, v27
	v_mul_f32_e32 v27, 0x3e750f2a, v64
	v_add_f32_e32 v26, v26, v28
	v_fmamk_f32 v28, v18, 0x3f52af12, v29
	v_fma_f32 v30, 0x3f116cb1, v66, -v30
	v_fmac_f32_e32 v29, 0xbf52af12, v18
	v_fmamk_f32 v65, v66, 0xbf788fa5, v27
	v_mul_f32_e32 v67, 0xbf788fa5, v14
	v_add_f32_e32 v69, v81, v69
	v_add_f32_e32 v28, v28, v32
	v_add_f32_e32 v30, v30, v34
	v_add_f32_e32 v29, v29, v31
	v_add_f32_e32 v31, v65, v52
	v_fmamk_f32 v32, v18, 0xbe750f2a, v67
	v_mul_f32_e32 v34, 0x3eedf032, v64
	v_fma_f32 v27, 0xbf788fa5, v66, -v27
	v_mul_f32_e32 v52, 0x3f62ad3f, v14
	v_add_f32_e32 v69, v78, v69
	v_add_f32_e32 v32, v32, v60
	v_fmamk_f32 v60, v66, 0x3f62ad3f, v34
	v_add_f32_e32 v27, v27, v35
	v_fmamk_f32 v35, v18, 0xbeedf032, v52
	v_mul_f32_e32 v64, 0xbf6f5d39, v64
	v_fma_f32 v34, 0x3f62ad3f, v66, -v34
	v_add_f32_e32 v69, v71, v69
	v_fmac_f32_e32 v67, 0x3e750f2a, v18
	v_add_f32_e32 v35, v35, v53
	v_fmamk_f32 v53, v66, 0xbeb58ec6, v64
	v_add_f32_e32 v34, v34, v61
	v_sub_f32_e32 v61, v2, v3
	v_add_f32_e32 v65, v67, v69
	v_add_f32_e32 v60, v60, v63
	v_fmac_f32_e32 v52, 0x3eedf032, v18
	v_mul_f32_e32 v14, 0xbeb58ec6, v14
	v_add_f32_e32 v59, v53, v59
	v_add_f32_e32 v63, v0, v1
	v_mul_f32_e32 v53, 0xbe750f2a, v61
	v_add_f32_e32 v67, v2, v3
	v_add_f32_e32 v62, v52, v62
	v_fmamk_f32 v52, v18, 0x3f6f5d39, v14
	v_fma_f32 v2, 0xbeb58ec6, v66, -v64
	v_fmac_f32_e32 v14, 0xbf6f5d39, v18
	v_sub_f32_e32 v64, v0, v1
	v_fmamk_f32 v0, v63, 0xbf788fa5, v53
	v_mul_f32_e32 v1, 0xbf788fa5, v67
	v_add_f32_e32 v66, v2, v17
	v_add_f32_e32 v68, v14, v15
	v_mul_f32_e32 v2, 0x3eedf032, v61
	v_add_f32_e32 v14, v0, v16
	v_fmamk_f32 v0, v64, 0x3e750f2a, v1
	v_fmac_f32_e32 v1, 0xbe750f2a, v64
	v_mul_f32_e32 v18, 0x3f62ad3f, v67
	v_fma_f32 v3, 0xbf788fa5, v63, -v53
	v_add_f32_e32 v33, v52, v33
	v_add_f32_e32 v15, v0, v19
	v_fmamk_f32 v0, v63, 0x3f62ad3f, v2
	v_add_f32_e32 v53, v1, v24
	v_fmamk_f32 v1, v64, 0xbeedf032, v18
	v_mul_f32_e32 v19, 0xbf29c268, v61
	v_fmac_f32_e32 v18, 0x3eedf032, v64
	v_add_f32_e32 v16, v0, v20
	v_fma_f32 v0, 0x3f62ad3f, v63, -v2
	v_add_f32_e32 v17, v1, v25
	v_fmamk_f32 v1, v63, 0xbf3f9e67, v19
	v_mul_f32_e32 v20, 0xbf3f9e67, v67
	v_add_f32_e32 v52, v3, v23
	v_add_f32_e32 v2, v0, v21
	v_mul_f32_e32 v21, 0x3f52af12, v61
	v_add_f32_e32 v3, v18, v22
	v_add_f32_e32 v18, v1, v26
	v_fmamk_f32 v0, v64, 0x3f29c268, v20
	v_fma_f32 v1, 0xbf3f9e67, v63, -v19
	v_fmac_f32_e32 v20, 0xbf29c268, v64
	v_fmamk_f32 v22, v63, 0x3f116cb1, v21
	v_mul_f32_e32 v23, 0x3f116cb1, v67
	v_add_f32_e32 v19, v0, v28
	v_add_f32_e32 v0, v1, v30
	;; [unrolled: 1-line block ×4, first 2 shown]
	v_fmamk_f32 v22, v64, 0xbf52af12, v23
	v_mul_f32_e32 v24, 0xbf6f5d39, v61
	v_fma_f32 v25, 0x3f116cb1, v63, -v21
	v_mul_f32_e32 v28, 0xbeb58ec6, v67
	v_mul_f32_e32 v29, 0x3f7e222b, v61
	v_add_f32_e32 v21, v22, v32
	v_fmamk_f32 v26, v63, 0xbeb58ec6, v24
	v_add_f32_e32 v22, v25, v27
	v_fma_f32 v27, 0xbeb58ec6, v63, -v24
	v_mul_f32_e32 v31, 0x3df6dbef, v67
	v_fmamk_f32 v25, v64, 0x3f6f5d39, v28
	v_add_f32_e32 v24, v26, v60
	v_fmac_f32_e32 v28, 0xbf6f5d39, v64
	v_add_f32_e32 v26, v27, v34
	v_fmamk_f32 v30, v63, 0x3df6dbef, v29
	v_fmamk_f32 v32, v64, 0xbf7e222b, v31
	v_fma_f32 v34, 0x3df6dbef, v63, -v29
	v_fmac_f32_e32 v31, 0x3f7e222b, v64
	v_fmac_f32_e32 v23, 0x3f52af12, v64
	v_add_f32_e32 v25, v25, v35
	v_add_f32_e32 v27, v28, v62
	;; [unrolled: 1-line block ×7, first 2 shown]
	ds_write2_b64 v93, v[12:13], v[14:15] offset1:17
	ds_write2_b64 v93, v[16:17], v[18:19] offset0:34 offset1:51
	ds_write2_b64 v93, v[20:21], v[24:25] offset0:68 offset1:85
	;; [unrolled: 1-line block ×5, first 2 shown]
	ds_write_b64 v93, v[52:53] offset:1632
	v_add_nc_u32_e32 v16, 0x400, v91
	s_waitcnt lgkmcnt(0)
	s_barrier
	buffer_gl0_inv
	ds_read2_b64 v[12:15], v91 offset1:85
	ds_read2_b64 v[24:27], v16 offset0:93 offset1:178
	ds_read2_b64 v[28:31], v56 offset0:58 offset1:143
	;; [unrolled: 1-line block ×4, first 2 shown]
	v_add_nc_u32_e32 v32, 0x2a8, v94
	s_and_saveexec_b32 s1, s0
	s_cbranch_execz .LBB0_19
; %bb.18:
	v_add_nc_u32_e32 v0, 0x500, v91
	v_add_nc_u32_e32 v33, 0x1300, v91
	ds_read2_b64 v[0:3], v0 offset0:10 offset1:231
	ds_read2_b64 v[52:55], v33 offset0:4 offset1:225
	ds_read_b64 v[72:73], v91 offset:8432
.LBB0_19:
	s_or_b32 exec_lo, exec_lo, s1
	s_waitcnt lgkmcnt(3)
	v_mul_f32_e32 v33, v45, v25
	v_mul_f32_e32 v34, v45, v24
	s_waitcnt lgkmcnt(2)
	v_mul_f32_e32 v35, v47, v29
	v_mul_f32_e32 v45, v47, v28
	v_fmac_f32_e32 v33, v44, v24
	v_fma_f32 v24, v44, v25, -v34
	s_waitcnt lgkmcnt(1)
	v_mul_f32_e32 v25, v41, v21
	v_mul_f32_e32 v34, v41, v20
	s_waitcnt lgkmcnt(0)
	v_mul_f32_e32 v41, v43, v17
	v_fmac_f32_e32 v35, v46, v28
	v_fma_f32 v28, v46, v29, -v45
	v_fmac_f32_e32 v25, v40, v20
	v_fma_f32 v29, v40, v21, -v34
	v_fmac_f32_e32 v41, v42, v16
	v_mul_f32_e32 v16, v43, v16
	v_mul_f32_e32 v20, v49, v26
	;; [unrolled: 1-line block ×5, first 2 shown]
	v_fma_f32 v42, v42, v17, -v16
	v_fma_f32 v43, v48, v27, -v20
	;; [unrolled: 1-line block ×3, first 2 shown]
	v_add_f32_e32 v16, v35, v25
	v_mul_f32_e32 v31, v37, v23
	v_mul_f32_e32 v17, v37, v22
	v_add_f32_e32 v20, v12, v33
	v_fmac_f32_e32 v40, v50, v30
	v_mul_f32_e32 v27, v39, v19
	v_fma_f32 v16, -0.5, v16, v12
	v_sub_f32_e32 v21, v24, v42
	v_fmac_f32_e32 v31, v36, v22
	v_fma_f32 v36, v36, v23, -v17
	v_add_f32_e32 v17, v20, v35
	v_add_f32_e32 v30, v33, v41
	v_fmac_f32_e32 v34, v48, v26
	v_fmac_f32_e32 v27, v38, v18
	v_fmamk_f32 v20, v21, 0xbf737871, v16
	v_sub_f32_e32 v23, v28, v29
	v_sub_f32_e32 v22, v33, v35
	;; [unrolled: 1-line block ×3, first 2 shown]
	v_mul_f32_e32 v37, v39, v18
	v_add_f32_e32 v17, v17, v25
	v_fma_f32 v18, -0.5, v30, v12
	v_fmac_f32_e32 v16, 0x3f737871, v21
	v_fmac_f32_e32 v20, 0xbf167918, v23
	v_add_f32_e32 v26, v22, v26
	v_fma_f32 v37, v38, v19, -v37
	v_add_f32_e32 v22, v17, v41
	v_fmamk_f32 v12, v23, 0x3f737871, v18
	v_sub_f32_e32 v17, v35, v33
	v_sub_f32_e32 v19, v25, v41
	v_fmac_f32_e32 v16, 0x3f167918, v23
	v_add_f32_e32 v30, v13, v24
	v_add_f32_e32 v38, v28, v29
	v_fmac_f32_e32 v18, 0xbf737871, v23
	v_fmac_f32_e32 v20, 0x3e9e377a, v26
	;; [unrolled: 1-line block ×3, first 2 shown]
	v_add_f32_e32 v19, v17, v19
	v_add_f32_e32 v23, v30, v28
	v_fma_f32 v17, -0.5, v38, v13
	v_sub_f32_e32 v30, v33, v41
	v_fmac_f32_e32 v16, 0x3e9e377a, v26
	v_fmac_f32_e32 v18, 0x3f167918, v21
	v_add_f32_e32 v26, v24, v42
	v_fmac_f32_e32 v12, 0x3e9e377a, v19
	v_fmamk_f32 v21, v30, 0x3f737871, v17
	v_sub_f32_e32 v25, v35, v25
	v_fmac_f32_e32 v18, 0x3e9e377a, v19
	v_fma_f32 v19, -0.5, v26, v13
	v_fmac_f32_e32 v17, 0xbf737871, v30
	v_add_f32_e32 v23, v23, v29
	v_sub_f32_e32 v33, v24, v28
	v_sub_f32_e32 v35, v42, v29
	v_fmac_f32_e32 v21, 0x3f167918, v25
	v_fmamk_f32 v13, v25, 0xbf737871, v19
	v_sub_f32_e32 v24, v28, v24
	v_sub_f32_e32 v28, v29, v42
	v_fmac_f32_e32 v17, 0xbf167918, v25
	v_add_f32_e32 v29, v40, v31
	v_fmac_f32_e32 v19, 0x3f737871, v25
	v_add_f32_e32 v25, v14, v34
	v_add_f32_e32 v26, v33, v35
	;; [unrolled: 1-line block ×3, first 2 shown]
	v_fma_f32 v24, -0.5, v29, v14
	v_sub_f32_e32 v29, v43, v37
	v_add_f32_e32 v25, v25, v40
	v_fmac_f32_e32 v21, 0x3e9e377a, v26
	v_fmac_f32_e32 v13, 0x3f167918, v30
	;; [unrolled: 1-line block ×4, first 2 shown]
	v_fmamk_f32 v26, v29, 0xbf737871, v24
	v_sub_f32_e32 v33, v44, v36
	v_sub_f32_e32 v30, v34, v40
	v_sub_f32_e32 v35, v27, v31
	v_fmac_f32_e32 v24, 0x3f737871, v29
	v_add_f32_e32 v38, v34, v27
	v_add_f32_e32 v25, v25, v31
	v_fmac_f32_e32 v13, 0x3e9e377a, v28
	v_fmac_f32_e32 v26, 0xbf167918, v33
	v_add_f32_e32 v30, v30, v35
	v_fmac_f32_e32 v24, 0x3f167918, v33
	v_fma_f32 v14, -0.5, v38, v14
	v_fmac_f32_e32 v19, 0x3e9e377a, v28
	v_add_f32_e32 v28, v25, v27
	v_add_f32_e32 v25, v15, v43
	v_fmac_f32_e32 v26, 0x3e9e377a, v30
	v_fmac_f32_e32 v24, 0x3e9e377a, v30
	v_fmamk_f32 v30, v33, 0x3f737871, v14
	v_fmac_f32_e32 v14, 0xbf737871, v33
	v_add_f32_e32 v33, v25, v44
	v_add_f32_e32 v35, v44, v36
	v_sub_f32_e32 v38, v40, v34
	v_sub_f32_e32 v39, v31, v27
	v_fmac_f32_e32 v30, 0xbf167918, v29
	v_fmac_f32_e32 v14, 0x3f167918, v29
	v_add_f32_e32 v29, v33, v36
	v_add_f32_e32 v33, v43, v37
	v_fma_f32 v25, -0.5, v35, v15
	v_sub_f32_e32 v34, v34, v27
	v_add_f32_e32 v35, v38, v39
	v_sub_f32_e32 v38, v40, v31
	v_fmac_f32_e32 v15, -0.5, v33
	v_sub_f32_e32 v33, v43, v44
	v_fmamk_f32 v27, v34, 0x3f737871, v25
	v_fmac_f32_e32 v30, 0x3e9e377a, v35
	v_fmac_f32_e32 v14, 0x3e9e377a, v35
	v_sub_f32_e32 v35, v37, v36
	v_fmac_f32_e32 v25, 0xbf737871, v34
	v_fmamk_f32 v31, v38, 0xbf737871, v15
	v_fmac_f32_e32 v15, 0x3f737871, v38
	v_sub_f32_e32 v39, v44, v43
	v_sub_f32_e32 v36, v36, v37
	v_fmac_f32_e32 v27, 0x3f167918, v38
	v_add_f32_e32 v33, v33, v35
	v_fmac_f32_e32 v25, 0xbf167918, v38
	v_fmac_f32_e32 v31, 0x3f167918, v34
	;; [unrolled: 1-line block ×3, first 2 shown]
	v_add_nc_u32_e32 v34, 0x600, v92
	v_add_f32_e32 v35, v39, v36
	v_fmac_f32_e32 v27, 0x3e9e377a, v33
	v_fmac_f32_e32 v25, 0x3e9e377a, v33
	v_add_nc_u32_e32 v33, 0x1400, v92
	ds_write2_b64 v34, v[20:21], v[12:13] offset0:29 offset1:250
	v_lshl_add_u32 v12, v89, 3, v87
	v_add_f32_e32 v23, v23, v42
	v_add_f32_e32 v29, v29, v37
	v_fmac_f32_e32 v31, 0x3e9e377a, v35
	v_add_nc_u32_e32 v13, 0x600, v32
	v_fmac_f32_e32 v15, 0x3e9e377a, v35
	v_add_nc_u32_e32 v20, 0x1400, v32
	ds_write2_b64 v33, v[18:19], v[16:17] offset0:23 offset1:244
	ds_write2_b64 v92, v[22:23], v[28:29] offset1:85
	ds_write2_b64 v13, v[26:27], v[30:31] offset0:29 offset1:250
	ds_write2_b64 v20, v[14:15], v[24:25] offset0:23 offset1:244
	s_and_saveexec_b32 s1, s0
	s_cbranch_execz .LBB0_21
; %bb.20:
	v_mul_f32_e32 v13, v9, v2
	v_mul_f32_e32 v14, v7, v72
	;; [unrolled: 1-line block ×6, first 2 shown]
	v_fma_f32 v13, v8, v3, -v13
	v_fma_f32 v14, v6, v73, -v14
	;; [unrolled: 1-line block ×3, first 2 shown]
	v_fmac_f32_e32 v16, v4, v54
	v_mul_f32_e32 v17, v9, v3
	v_mul_f32_e32 v18, v7, v73
	v_fma_f32 v4, v4, v55, -v5
	v_fmac_f32_e32 v11, v10, v52
	v_add_f32_e32 v10, v13, v14
	v_fmac_f32_e32 v17, v8, v2
	v_fmac_f32_e32 v18, v6, v72
	v_add_f32_e32 v7, v15, v4
	v_sub_f32_e32 v19, v11, v16
	v_fma_f32 v3, -0.5, v10, v1
	v_sub_f32_e32 v2, v15, v13
	v_sub_f32_e32 v6, v4, v14
	;; [unrolled: 1-line block ×3, first 2 shown]
	v_fma_f32 v7, -0.5, v7, v1
	v_fmamk_f32 v5, v19, 0x3f737871, v3
	v_fmac_f32_e32 v3, 0xbf737871, v19
	v_add_f32_e32 v2, v2, v6
	v_sub_f32_e32 v6, v13, v15
	v_sub_f32_e32 v10, v14, v4
	v_fmamk_f32 v9, v8, 0xbf737871, v7
	v_fmac_f32_e32 v7, 0x3f737871, v8
	v_fmac_f32_e32 v5, 0xbf167918, v8
	;; [unrolled: 1-line block ×3, first 2 shown]
	v_add_f32_e32 v1, v1, v13
	v_add_f32_e32 v6, v6, v10
	v_fmac_f32_e32 v9, 0xbf167918, v19
	v_fmac_f32_e32 v7, 0x3f167918, v19
	;; [unrolled: 1-line block ×3, first 2 shown]
	v_add_f32_e32 v1, v1, v15
	v_fmac_f32_e32 v3, 0x3e9e377a, v2
	v_fmac_f32_e32 v9, 0x3e9e377a, v6
	v_add_f32_e32 v2, v17, v18
	v_fmac_f32_e32 v7, 0x3e9e377a, v6
	v_sub_f32_e32 v6, v11, v17
	v_sub_f32_e32 v8, v16, v18
	v_sub_f32_e32 v10, v15, v4
	v_add_f32_e32 v15, v11, v16
	v_add_f32_e32 v1, v1, v4
	v_fma_f32 v2, -0.5, v2, v0
	v_add_f32_e32 v19, v6, v8
	v_sub_f32_e32 v13, v13, v14
	v_fma_f32 v6, -0.5, v15, v0
	v_add_f32_e32 v0, v0, v17
	v_add_f32_e32 v1, v1, v14
	v_sub_f32_e32 v14, v17, v11
	v_sub_f32_e32 v15, v18, v16
	v_fmamk_f32 v8, v13, 0x3f737871, v6
	v_fmac_f32_e32 v6, 0xbf737871, v13
	v_add_f32_e32 v0, v0, v11
	v_fmamk_f32 v4, v10, 0xbf737871, v2
	v_fmac_f32_e32 v2, 0x3f737871, v10
	v_add_f32_e32 v11, v14, v15
	v_fmac_f32_e32 v6, 0xbf167918, v10
	v_add_f32_e32 v0, v0, v16
	v_fmac_f32_e32 v4, 0x3f167918, v13
	v_fmac_f32_e32 v2, 0xbf167918, v13
	;; [unrolled: 1-line block ×4, first 2 shown]
	v_add_f32_e32 v0, v0, v18
	v_add_nc_u32_e32 v10, 0x500, v12
	v_fmac_f32_e32 v4, 0x3e9e377a, v19
	v_fmac_f32_e32 v2, 0x3e9e377a, v19
	v_add_nc_u32_e32 v13, 0x1300, v12
	v_fmac_f32_e32 v8, 0x3e9e377a, v11
	ds_write2_b64 v10, v[0:1], v[6:7] offset0:10 offset1:231
	ds_write2_b64 v13, v[2:3], v[4:5] offset0:4 offset1:225
	ds_write_b64 v12, v[8:9] offset:8432
.LBB0_21:
	s_or_b32 exec_lo, exec_lo, s1
	s_waitcnt lgkmcnt(0)
	s_barrier
	buffer_gl0_inv
	s_and_b32 exec_lo, exec_lo, vcc_lo
	s_cbranch_execz .LBB0_23
; %bb.22:
	global_load_dwordx2 v[0:1], v87, s[12:13]
	ds_read_b64 v[2:3], v92
	s_mov_b32 s0, 0x1da7801e
	s_mov_b32 s1, 0x3f4da780
	v_mad_u64_u32 v[6:7], null, s4, v88, 0
	s_mul_i32 s2, s5, 0x208
	s_mul_i32 s3, s4, 0x208
	s_waitcnt vmcnt(0) lgkmcnt(0)
	v_mul_f32_e32 v4, v3, v1
	v_mul_f32_e32 v1, v2, v1
	v_fmac_f32_e32 v4, v2, v0
	v_fma_f32 v2, v0, v3, -v1
	v_cvt_f64_f32_e32 v[0:1], v4
	v_cvt_f64_f32_e32 v[2:3], v2
	v_mad_u64_u32 v[4:5], null, s6, v84, 0
	v_mad_u64_u32 v[8:9], null, s7, v84, v[5:6]
	v_mad_u64_u32 v[9:10], null, s5, v88, v[7:8]
	v_mov_b32_e32 v5, v8
	s_mul_hi_u32 s5, s4, 0x208
	v_mul_f64 v[0:1], v[0:1], s[0:1]
	v_mul_f64 v[2:3], v[2:3], s[0:1]
	s_add_i32 s2, s5, s2
	v_add_co_u32 v10, s4, s12, v87
	v_mov_b32_e32 v7, v9
	v_add_co_ci_u32_e64 v11, null, s13, 0, s4
	v_cvt_f32_f64_e32 v0, v[0:1]
	v_cvt_f32_f64_e32 v1, v[2:3]
	v_lshlrev_b64 v[2:3], 3, v[4:5]
	v_lshlrev_b64 v[4:5], 3, v[6:7]
	v_add_co_u32 v2, vcc_lo, s14, v2
	v_add_co_ci_u32_e32 v3, vcc_lo, s15, v3, vcc_lo
	v_add_co_u32 v4, vcc_lo, v2, v4
	v_add_co_ci_u32_e32 v5, vcc_lo, v3, v5, vcc_lo
	global_store_dwordx2 v[4:5], v[0:1], off
	global_load_dwordx2 v[6:7], v87, s[12:13] offset:520
	ds_read2_b64 v[0:3], v12 offset0:65 offset1:130
	v_add_co_u32 v4, vcc_lo, v4, s3
	v_add_co_ci_u32_e32 v5, vcc_lo, s2, v5, vcc_lo
	s_waitcnt vmcnt(0) lgkmcnt(0)
	v_mul_f32_e32 v8, v1, v7
	v_mul_f32_e32 v7, v0, v7
	v_fmac_f32_e32 v8, v0, v6
	v_fma_f32 v6, v6, v1, -v7
	v_cvt_f64_f32_e32 v[0:1], v8
	v_cvt_f64_f32_e32 v[6:7], v6
	v_mul_f64 v[0:1], v[0:1], s[0:1]
	v_mul_f64 v[6:7], v[6:7], s[0:1]
	v_cvt_f32_f64_e32 v0, v[0:1]
	v_cvt_f32_f64_e32 v1, v[6:7]
	global_store_dwordx2 v[4:5], v[0:1], off
	global_load_dwordx2 v[0:1], v87, s[12:13] offset:1040
	v_add_co_u32 v4, vcc_lo, v4, s3
	v_add_co_ci_u32_e32 v5, vcc_lo, s2, v5, vcc_lo
	s_waitcnt vmcnt(0)
	v_mul_f32_e32 v6, v3, v1
	v_mul_f32_e32 v1, v2, v1
	v_fmac_f32_e32 v6, v2, v0
	v_fma_f32 v2, v0, v3, -v1
	v_cvt_f64_f32_e32 v[0:1], v6
	v_cvt_f64_f32_e32 v[2:3], v2
	v_mul_f64 v[0:1], v[0:1], s[0:1]
	v_mul_f64 v[2:3], v[2:3], s[0:1]
	v_cvt_f32_f64_e32 v0, v[0:1]
	v_cvt_f32_f64_e32 v1, v[2:3]
	global_store_dwordx2 v[4:5], v[0:1], off
	global_load_dwordx2 v[6:7], v87, s[12:13] offset:1560
	v_add_nc_u32_e32 v0, 0x400, v12
	v_add_co_u32 v4, vcc_lo, v4, s3
	v_add_co_ci_u32_e32 v5, vcc_lo, s2, v5, vcc_lo
	ds_read2_b64 v[0:3], v0 offset0:67 offset1:132
	s_waitcnt vmcnt(0) lgkmcnt(0)
	v_mul_f32_e32 v8, v1, v7
	v_mul_f32_e32 v7, v0, v7
	v_fmac_f32_e32 v8, v0, v6
	v_fma_f32 v6, v6, v1, -v7
	v_cvt_f64_f32_e32 v[0:1], v8
	v_cvt_f64_f32_e32 v[6:7], v6
	v_mul_f64 v[0:1], v[0:1], s[0:1]
	v_mul_f64 v[6:7], v[6:7], s[0:1]
	v_cvt_f32_f64_e32 v0, v[0:1]
	v_cvt_f32_f64_e32 v1, v[6:7]
	v_add_co_u32 v6, vcc_lo, 0x800, v10
	v_add_co_ci_u32_e32 v7, vcc_lo, 0, v11, vcc_lo
	global_store_dwordx2 v[4:5], v[0:1], off
	global_load_dwordx2 v[0:1], v[6:7], off offset:32
	v_add_co_u32 v4, vcc_lo, v4, s3
	v_add_co_ci_u32_e32 v5, vcc_lo, s2, v5, vcc_lo
	s_waitcnt vmcnt(0)
	v_mul_f32_e32 v8, v3, v1
	v_mul_f32_e32 v1, v2, v1
	v_fmac_f32_e32 v8, v2, v0
	v_fma_f32 v2, v0, v3, -v1
	v_cvt_f64_f32_e32 v[0:1], v8
	v_cvt_f64_f32_e32 v[2:3], v2
	v_mul_f64 v[0:1], v[0:1], s[0:1]
	v_mul_f64 v[2:3], v[2:3], s[0:1]
	v_cvt_f32_f64_e32 v0, v[0:1]
	v_cvt_f32_f64_e32 v1, v[2:3]
	global_store_dwordx2 v[4:5], v[0:1], off
	global_load_dwordx2 v[8:9], v[6:7], off offset:552
	v_add_nc_u32_e32 v0, 0x800, v12
	v_add_co_u32 v4, vcc_lo, v4, s3
	v_add_co_ci_u32_e32 v5, vcc_lo, s2, v5, vcc_lo
	ds_read2_b64 v[0:3], v0 offset0:69 offset1:134
	s_waitcnt vmcnt(0) lgkmcnt(0)
	v_mul_f32_e32 v13, v1, v9
	v_mul_f32_e32 v9, v0, v9
	v_fmac_f32_e32 v13, v0, v8
	v_fma_f32 v8, v8, v1, -v9
	v_cvt_f64_f32_e32 v[0:1], v13
	v_cvt_f64_f32_e32 v[8:9], v8
	v_mul_f64 v[0:1], v[0:1], s[0:1]
	v_mul_f64 v[8:9], v[8:9], s[0:1]
	v_cvt_f32_f64_e32 v0, v[0:1]
	v_cvt_f32_f64_e32 v1, v[8:9]
	global_store_dwordx2 v[4:5], v[0:1], off
	global_load_dwordx2 v[0:1], v[6:7], off offset:1072
	v_add_co_u32 v4, vcc_lo, v4, s3
	v_add_co_ci_u32_e32 v5, vcc_lo, s2, v5, vcc_lo
	s_waitcnt vmcnt(0)
	v_mul_f32_e32 v8, v3, v1
	v_mul_f32_e32 v1, v2, v1
	v_fmac_f32_e32 v8, v2, v0
	v_fma_f32 v2, v0, v3, -v1
	v_cvt_f64_f32_e32 v[0:1], v8
	v_cvt_f64_f32_e32 v[2:3], v2
	v_mul_f64 v[0:1], v[0:1], s[0:1]
	v_mul_f64 v[2:3], v[2:3], s[0:1]
	v_cvt_f32_f64_e32 v0, v[0:1]
	v_cvt_f32_f64_e32 v1, v[2:3]
	global_store_dwordx2 v[4:5], v[0:1], off
	global_load_dwordx2 v[6:7], v[6:7], off offset:1592
	v_add_nc_u32_e32 v0, 0xc00, v12
	v_add_co_u32 v4, vcc_lo, v4, s3
	v_add_co_ci_u32_e32 v5, vcc_lo, s2, v5, vcc_lo
	ds_read2_b64 v[0:3], v0 offset0:71 offset1:136
	s_waitcnt vmcnt(0) lgkmcnt(0)
	v_mul_f32_e32 v8, v1, v7
	v_mul_f32_e32 v7, v0, v7
	v_fmac_f32_e32 v8, v0, v6
	v_fma_f32 v6, v6, v1, -v7
	v_cvt_f64_f32_e32 v[0:1], v8
	v_cvt_f64_f32_e32 v[6:7], v6
	v_mul_f64 v[0:1], v[0:1], s[0:1]
	v_mul_f64 v[6:7], v[6:7], s[0:1]
	v_cvt_f32_f64_e32 v0, v[0:1]
	v_cvt_f32_f64_e32 v1, v[6:7]
	v_add_co_u32 v6, vcc_lo, 0x1000, v10
	v_add_co_ci_u32_e32 v7, vcc_lo, 0, v11, vcc_lo
	global_store_dwordx2 v[4:5], v[0:1], off
	global_load_dwordx2 v[0:1], v[6:7], off offset:64
	v_add_co_u32 v4, vcc_lo, v4, s3
	v_add_co_ci_u32_e32 v5, vcc_lo, s2, v5, vcc_lo
	s_waitcnt vmcnt(0)
	v_mul_f32_e32 v8, v3, v1
	v_mul_f32_e32 v1, v2, v1
	v_fmac_f32_e32 v8, v2, v0
	v_fma_f32 v2, v0, v3, -v1
	v_cvt_f64_f32_e32 v[0:1], v8
	v_cvt_f64_f32_e32 v[2:3], v2
	v_mul_f64 v[0:1], v[0:1], s[0:1]
	v_mul_f64 v[2:3], v[2:3], s[0:1]
	v_cvt_f32_f64_e32 v0, v[0:1]
	v_cvt_f32_f64_e32 v1, v[2:3]
	global_store_dwordx2 v[4:5], v[0:1], off
	global_load_dwordx2 v[8:9], v[6:7], off offset:584
	v_add_nc_u32_e32 v0, 0x1000, v12
	v_add_co_u32 v4, vcc_lo, v4, s3
	v_add_co_ci_u32_e32 v5, vcc_lo, s2, v5, vcc_lo
	ds_read2_b64 v[0:3], v0 offset0:73 offset1:138
	s_waitcnt vmcnt(0) lgkmcnt(0)
	v_mul_f32_e32 v13, v1, v9
	v_mul_f32_e32 v9, v0, v9
	v_fmac_f32_e32 v13, v0, v8
	v_fma_f32 v8, v8, v1, -v9
	v_cvt_f64_f32_e32 v[0:1], v13
	v_cvt_f64_f32_e32 v[8:9], v8
	v_mul_f64 v[0:1], v[0:1], s[0:1]
	v_mul_f64 v[8:9], v[8:9], s[0:1]
	v_cvt_f32_f64_e32 v0, v[0:1]
	v_cvt_f32_f64_e32 v1, v[8:9]
	global_store_dwordx2 v[4:5], v[0:1], off
	global_load_dwordx2 v[0:1], v[6:7], off offset:1104
	v_add_co_u32 v4, vcc_lo, v4, s3
	v_add_co_ci_u32_e32 v5, vcc_lo, s2, v5, vcc_lo
	s_waitcnt vmcnt(0)
	v_mul_f32_e32 v8, v3, v1
	v_mul_f32_e32 v1, v2, v1
	v_fmac_f32_e32 v8, v2, v0
	v_fma_f32 v2, v0, v3, -v1
	v_cvt_f64_f32_e32 v[0:1], v8
	v_cvt_f64_f32_e32 v[2:3], v2
	v_mul_f64 v[0:1], v[0:1], s[0:1]
	v_mul_f64 v[2:3], v[2:3], s[0:1]
	v_cvt_f32_f64_e32 v0, v[0:1]
	v_cvt_f32_f64_e32 v1, v[2:3]
	global_store_dwordx2 v[4:5], v[0:1], off
	global_load_dwordx2 v[6:7], v[6:7], off offset:1624
	v_add_nc_u32_e32 v0, 0x1400, v12
	v_add_co_u32 v4, vcc_lo, v4, s3
	v_add_co_ci_u32_e32 v5, vcc_lo, s2, v5, vcc_lo
	ds_read2_b64 v[0:3], v0 offset0:75 offset1:140
	s_waitcnt vmcnt(0) lgkmcnt(0)
	v_mul_f32_e32 v8, v1, v7
	v_mul_f32_e32 v7, v0, v7
	v_fmac_f32_e32 v8, v0, v6
	v_fma_f32 v6, v6, v1, -v7
	v_cvt_f64_f32_e32 v[0:1], v8
	v_cvt_f64_f32_e32 v[6:7], v6
	v_mul_f64 v[0:1], v[0:1], s[0:1]
	v_mul_f64 v[6:7], v[6:7], s[0:1]
	v_cvt_f32_f64_e32 v0, v[0:1]
	v_cvt_f32_f64_e32 v1, v[6:7]
	v_add_co_u32 v6, vcc_lo, 0x1800, v10
	v_add_co_ci_u32_e32 v7, vcc_lo, 0, v11, vcc_lo
	global_store_dwordx2 v[4:5], v[0:1], off
	global_load_dwordx2 v[0:1], v[6:7], off offset:96
	v_add_co_u32 v4, vcc_lo, v4, s3
	v_add_co_ci_u32_e32 v5, vcc_lo, s2, v5, vcc_lo
	s_waitcnt vmcnt(0)
	v_mul_f32_e32 v8, v3, v1
	v_mul_f32_e32 v1, v2, v1
	v_fmac_f32_e32 v8, v2, v0
	v_fma_f32 v2, v0, v3, -v1
	v_cvt_f64_f32_e32 v[0:1], v8
	v_cvt_f64_f32_e32 v[2:3], v2
	v_mul_f64 v[0:1], v[0:1], s[0:1]
	v_mul_f64 v[2:3], v[2:3], s[0:1]
	v_cvt_f32_f64_e32 v0, v[0:1]
	v_cvt_f32_f64_e32 v1, v[2:3]
	global_store_dwordx2 v[4:5], v[0:1], off
	global_load_dwordx2 v[8:9], v[6:7], off offset:616
	v_add_nc_u32_e32 v0, 0x1800, v12
	v_add_co_u32 v4, vcc_lo, v4, s3
	v_add_co_ci_u32_e32 v5, vcc_lo, s2, v5, vcc_lo
	ds_read2_b64 v[0:3], v0 offset0:77 offset1:142
	s_waitcnt vmcnt(0) lgkmcnt(0)
	v_mul_f32_e32 v13, v1, v9
	v_mul_f32_e32 v9, v0, v9
	v_fmac_f32_e32 v13, v0, v8
	v_fma_f32 v8, v8, v1, -v9
	v_cvt_f64_f32_e32 v[0:1], v13
	v_cvt_f64_f32_e32 v[8:9], v8
	v_mul_f64 v[0:1], v[0:1], s[0:1]
	v_mul_f64 v[8:9], v[8:9], s[0:1]
	v_cvt_f32_f64_e32 v0, v[0:1]
	v_cvt_f32_f64_e32 v1, v[8:9]
	global_store_dwordx2 v[4:5], v[0:1], off
	global_load_dwordx2 v[0:1], v[6:7], off offset:1136
	v_add_co_u32 v4, vcc_lo, v4, s3
	v_add_co_ci_u32_e32 v5, vcc_lo, s2, v5, vcc_lo
	s_waitcnt vmcnt(0)
	v_mul_f32_e32 v8, v3, v1
	v_mul_f32_e32 v1, v2, v1
	v_fmac_f32_e32 v8, v2, v0
	v_fma_f32 v2, v0, v3, -v1
	v_cvt_f64_f32_e32 v[0:1], v8
	v_cvt_f64_f32_e32 v[2:3], v2
	v_mul_f64 v[0:1], v[0:1], s[0:1]
	v_mul_f64 v[2:3], v[2:3], s[0:1]
	v_cvt_f32_f64_e32 v0, v[0:1]
	v_cvt_f32_f64_e32 v1, v[2:3]
	global_store_dwordx2 v[4:5], v[0:1], off
	global_load_dwordx2 v[6:7], v[6:7], off offset:1656
	v_add_nc_u32_e32 v0, 0x1c00, v12
	v_add_co_u32 v4, vcc_lo, v4, s3
	v_add_co_ci_u32_e32 v5, vcc_lo, s2, v5, vcc_lo
	ds_read2_b64 v[0:3], v0 offset0:79 offset1:144
	s_waitcnt vmcnt(0) lgkmcnt(0)
	v_mul_f32_e32 v8, v1, v7
	v_mul_f32_e32 v7, v0, v7
	v_fmac_f32_e32 v8, v0, v6
	v_fma_f32 v6, v6, v1, -v7
	v_cvt_f64_f32_e32 v[0:1], v8
	v_cvt_f64_f32_e32 v[6:7], v6
	v_mul_f64 v[0:1], v[0:1], s[0:1]
	v_mul_f64 v[6:7], v[6:7], s[0:1]
	v_cvt_f32_f64_e32 v0, v[0:1]
	v_cvt_f32_f64_e32 v1, v[6:7]
	v_add_co_u32 v6, vcc_lo, 0x2000, v10
	v_add_co_ci_u32_e32 v7, vcc_lo, 0, v11, vcc_lo
	global_store_dwordx2 v[4:5], v[0:1], off
	global_load_dwordx2 v[0:1], v[6:7], off offset:128
	s_waitcnt vmcnt(0)
	v_mul_f32_e32 v6, v3, v1
	v_mul_f32_e32 v1, v2, v1
	v_fmac_f32_e32 v6, v2, v0
	v_fma_f32 v2, v0, v3, -v1
	v_cvt_f64_f32_e32 v[0:1], v6
	v_cvt_f64_f32_e32 v[2:3], v2
	v_mul_f64 v[0:1], v[0:1], s[0:1]
	v_mul_f64 v[2:3], v[2:3], s[0:1]
	v_cvt_f32_f64_e32 v0, v[0:1]
	v_cvt_f32_f64_e32 v1, v[2:3]
	v_add_co_u32 v2, vcc_lo, v4, s3
	v_add_co_ci_u32_e32 v3, vcc_lo, s2, v5, vcc_lo
	global_store_dwordx2 v[2:3], v[0:1], off
.LBB0_23:
	s_endpgm
	.section	.rodata,"a",@progbits
	.p2align	6, 0x0
	.amdhsa_kernel bluestein_single_fwd_len1105_dim1_sp_op_CI_CI
		.amdhsa_group_segment_fixed_size 26520
		.amdhsa_private_segment_fixed_size 0
		.amdhsa_kernarg_size 104
		.amdhsa_user_sgpr_count 6
		.amdhsa_user_sgpr_private_segment_buffer 1
		.amdhsa_user_sgpr_dispatch_ptr 0
		.amdhsa_user_sgpr_queue_ptr 0
		.amdhsa_user_sgpr_kernarg_segment_ptr 1
		.amdhsa_user_sgpr_dispatch_id 0
		.amdhsa_user_sgpr_flat_scratch_init 0
		.amdhsa_user_sgpr_private_segment_size 0
		.amdhsa_wavefront_size32 1
		.amdhsa_uses_dynamic_stack 0
		.amdhsa_system_sgpr_private_segment_wavefront_offset 0
		.amdhsa_system_sgpr_workgroup_id_x 1
		.amdhsa_system_sgpr_workgroup_id_y 0
		.amdhsa_system_sgpr_workgroup_id_z 0
		.amdhsa_system_sgpr_workgroup_info 0
		.amdhsa_system_vgpr_workitem_id 0
		.amdhsa_next_free_vgpr 211
		.amdhsa_next_free_sgpr 16
		.amdhsa_reserve_vcc 1
		.amdhsa_reserve_flat_scratch 0
		.amdhsa_float_round_mode_32 0
		.amdhsa_float_round_mode_16_64 0
		.amdhsa_float_denorm_mode_32 3
		.amdhsa_float_denorm_mode_16_64 3
		.amdhsa_dx10_clamp 1
		.amdhsa_ieee_mode 1
		.amdhsa_fp16_overflow 0
		.amdhsa_workgroup_processor_mode 1
		.amdhsa_memory_ordered 1
		.amdhsa_forward_progress 0
		.amdhsa_shared_vgpr_count 0
		.amdhsa_exception_fp_ieee_invalid_op 0
		.amdhsa_exception_fp_denorm_src 0
		.amdhsa_exception_fp_ieee_div_zero 0
		.amdhsa_exception_fp_ieee_overflow 0
		.amdhsa_exception_fp_ieee_underflow 0
		.amdhsa_exception_fp_ieee_inexact 0
		.amdhsa_exception_int_div_zero 0
	.end_amdhsa_kernel
	.text
.Lfunc_end0:
	.size	bluestein_single_fwd_len1105_dim1_sp_op_CI_CI, .Lfunc_end0-bluestein_single_fwd_len1105_dim1_sp_op_CI_CI
                                        ; -- End function
	.section	.AMDGPU.csdata,"",@progbits
; Kernel info:
; codeLenInByte = 24048
; NumSgprs: 18
; NumVgprs: 211
; ScratchSize: 0
; MemoryBound: 0
; FloatMode: 240
; IeeeMode: 1
; LDSByteSize: 26520 bytes/workgroup (compile time only)
; SGPRBlocks: 2
; VGPRBlocks: 26
; NumSGPRsForWavesPerEU: 18
; NumVGPRsForWavesPerEU: 211
; Occupancy: 4
; WaveLimiterHint : 1
; COMPUTE_PGM_RSRC2:SCRATCH_EN: 0
; COMPUTE_PGM_RSRC2:USER_SGPR: 6
; COMPUTE_PGM_RSRC2:TRAP_HANDLER: 0
; COMPUTE_PGM_RSRC2:TGID_X_EN: 1
; COMPUTE_PGM_RSRC2:TGID_Y_EN: 0
; COMPUTE_PGM_RSRC2:TGID_Z_EN: 0
; COMPUTE_PGM_RSRC2:TIDIG_COMP_CNT: 0
	.text
	.p2alignl 6, 3214868480
	.fill 48, 4, 3214868480
	.type	__hip_cuid_563e4ecb4c3d451c,@object ; @__hip_cuid_563e4ecb4c3d451c
	.section	.bss,"aw",@nobits
	.globl	__hip_cuid_563e4ecb4c3d451c
__hip_cuid_563e4ecb4c3d451c:
	.byte	0                               ; 0x0
	.size	__hip_cuid_563e4ecb4c3d451c, 1

	.ident	"AMD clang version 19.0.0git (https://github.com/RadeonOpenCompute/llvm-project roc-6.4.0 25133 c7fe45cf4b819c5991fe208aaa96edf142730f1d)"
	.section	".note.GNU-stack","",@progbits
	.addrsig
	.addrsig_sym __hip_cuid_563e4ecb4c3d451c
	.amdgpu_metadata
---
amdhsa.kernels:
  - .args:
      - .actual_access:  read_only
        .address_space:  global
        .offset:         0
        .size:           8
        .value_kind:     global_buffer
      - .actual_access:  read_only
        .address_space:  global
        .offset:         8
        .size:           8
        .value_kind:     global_buffer
      - .actual_access:  read_only
        .address_space:  global
        .offset:         16
        .size:           8
        .value_kind:     global_buffer
      - .actual_access:  read_only
        .address_space:  global
        .offset:         24
        .size:           8
        .value_kind:     global_buffer
      - .actual_access:  read_only
        .address_space:  global
        .offset:         32
        .size:           8
        .value_kind:     global_buffer
      - .offset:         40
        .size:           8
        .value_kind:     by_value
      - .address_space:  global
        .offset:         48
        .size:           8
        .value_kind:     global_buffer
      - .address_space:  global
        .offset:         56
        .size:           8
        .value_kind:     global_buffer
      - .address_space:  global
        .offset:         64
        .size:           8
        .value_kind:     global_buffer
      - .address_space:  global
        .offset:         72
        .size:           8
        .value_kind:     global_buffer
      - .offset:         80
        .size:           4
        .value_kind:     by_value
      - .address_space:  global
        .offset:         88
        .size:           8
        .value_kind:     global_buffer
      - .address_space:  global
        .offset:         96
        .size:           8
        .value_kind:     global_buffer
    .group_segment_fixed_size: 26520
    .kernarg_segment_align: 8
    .kernarg_segment_size: 104
    .language:       OpenCL C
    .language_version:
      - 2
      - 0
    .max_flat_workgroup_size: 255
    .name:           bluestein_single_fwd_len1105_dim1_sp_op_CI_CI
    .private_segment_fixed_size: 0
    .sgpr_count:     18
    .sgpr_spill_count: 0
    .symbol:         bluestein_single_fwd_len1105_dim1_sp_op_CI_CI.kd
    .uniform_work_group_size: 1
    .uses_dynamic_stack: false
    .vgpr_count:     211
    .vgpr_spill_count: 0
    .wavefront_size: 32
    .workgroup_processor_mode: 1
amdhsa.target:   amdgcn-amd-amdhsa--gfx1030
amdhsa.version:
  - 1
  - 2
...

	.end_amdgpu_metadata
